;; amdgpu-corpus repo=ROCm/rocSPARSE kind=compiled arch=gfx906 opt=O3
	.amdgcn_target "amdgcn-amd-amdhsa--gfx906"
	.amdhsa_code_object_version 6
	.section	.text._ZN9rocsparseL22ell_width_kernel_part1ILj512EiiEEvT1_PKT0_PS1_,"axG",@progbits,_ZN9rocsparseL22ell_width_kernel_part1ILj512EiiEEvT1_PKT0_PS1_,comdat
	.globl	_ZN9rocsparseL22ell_width_kernel_part1ILj512EiiEEvT1_PKT0_PS1_ ; -- Begin function _ZN9rocsparseL22ell_width_kernel_part1ILj512EiiEEvT1_PKT0_PS1_
	.p2align	8
	.type	_ZN9rocsparseL22ell_width_kernel_part1ILj512EiiEEvT1_PKT0_PS1_,@function
_ZN9rocsparseL22ell_width_kernel_part1ILj512EiiEEvT1_PKT0_PS1_: ; @_ZN9rocsparseL22ell_width_kernel_part1ILj512EiiEEvT1_PKT0_PS1_
; %bb.0:
	s_load_dword s7, s[4:5], 0x0
	s_load_dwordx4 s[0:3], s[4:5], 0x8
	v_lshl_or_b32 v1, s6, 9, v0
	v_lshlrev_b32_e32 v3, 2, v0
	v_mov_b32_e32 v2, 0
	s_waitcnt lgkmcnt(0)
	v_cmp_gt_u32_e32 vcc, s7, v1
	ds_write_b32 v3, v2
	s_and_saveexec_b64 s[8:9], vcc
	s_cbranch_execz .LBB0_4
; %bb.1:
	s_load_dword s10, s[4:5], 0x18
	s_mov_b64 s[4:5], 0
	v_mov_b32_e32 v4, s1
	v_mov_b32_e32 v5, v2
	s_waitcnt lgkmcnt(0)
	s_lshl_b32 s1, s10, 9
.LBB0_2:                                ; =>This Inner Loop Header: Depth=1
	v_lshlrev_b64 v[6:7], 2, v[1:2]
	v_add_u32_e32 v1, s1, v1
	v_add_co_u32_e32 v6, vcc, s0, v6
	v_addc_co_u32_e32 v7, vcc, v4, v7, vcc
	global_load_dwordx2 v[6:7], v[6:7], off
	v_cmp_le_u32_e32 vcc, s7, v1
	s_or_b64 s[4:5], vcc, s[4:5]
	s_waitcnt vmcnt(0)
	v_sub_u32_e32 v6, v7, v6
	v_max_i32_e32 v5, v5, v6
	s_andn2_b64 exec, exec, s[4:5]
	s_cbranch_execnz .LBB0_2
; %bb.3:
	s_or_b64 exec, exec, s[4:5]
	ds_write_b32 v3, v5
.LBB0_4:
	s_or_b64 exec, exec, s[8:9]
	s_movk_i32 s0, 0x100
	v_cmp_gt_u32_e32 vcc, s0, v0
	s_waitcnt lgkmcnt(0)
	s_barrier
	s_and_saveexec_b64 s[0:1], vcc
	s_cbranch_execz .LBB0_6
; %bb.5:
	ds_read2st64_b32 v[1:2], v3 offset1:4
	s_waitcnt lgkmcnt(0)
	v_max_i32_e32 v1, v1, v2
	ds_write_b32 v3, v1
.LBB0_6:
	s_or_b64 exec, exec, s[0:1]
	s_movk_i32 s0, 0x80
	v_cmp_gt_u32_e32 vcc, s0, v0
	s_waitcnt lgkmcnt(0)
	s_barrier
	s_and_saveexec_b64 s[0:1], vcc
	s_cbranch_execz .LBB0_8
; %bb.7:
	ds_read2st64_b32 v[1:2], v3 offset1:2
	s_waitcnt lgkmcnt(0)
	v_max_i32_e32 v1, v1, v2
	ds_write_b32 v3, v1
.LBB0_8:
	s_or_b64 exec, exec, s[0:1]
	v_cmp_gt_u32_e32 vcc, 64, v0
	s_waitcnt lgkmcnt(0)
	s_barrier
	s_and_saveexec_b64 s[0:1], vcc
	s_cbranch_execz .LBB0_10
; %bb.9:
	ds_read2st64_b32 v[1:2], v3 offset1:1
	s_waitcnt lgkmcnt(0)
	v_max_i32_e32 v1, v1, v2
	ds_write_b32 v3, v1
.LBB0_10:
	s_or_b64 exec, exec, s[0:1]
	v_cmp_gt_u32_e32 vcc, 32, v0
	s_waitcnt lgkmcnt(0)
	s_barrier
	s_and_saveexec_b64 s[0:1], vcc
	s_cbranch_execz .LBB0_12
; %bb.11:
	ds_read2_b32 v[1:2], v3 offset1:32
	s_waitcnt lgkmcnt(0)
	v_max_i32_e32 v1, v1, v2
	ds_write_b32 v3, v1
.LBB0_12:
	s_or_b64 exec, exec, s[0:1]
	v_cmp_gt_u32_e32 vcc, 16, v0
	s_waitcnt lgkmcnt(0)
	s_barrier
	s_and_saveexec_b64 s[0:1], vcc
	s_cbranch_execz .LBB0_14
; %bb.13:
	ds_read2_b32 v[1:2], v3 offset1:16
	s_waitcnt lgkmcnt(0)
	v_max_i32_e32 v1, v1, v2
	ds_write_b32 v3, v1
.LBB0_14:
	s_or_b64 exec, exec, s[0:1]
	v_cmp_gt_u32_e32 vcc, 8, v0
	s_waitcnt lgkmcnt(0)
	s_barrier
	s_and_saveexec_b64 s[0:1], vcc
	s_cbranch_execz .LBB0_16
; %bb.15:
	ds_read2_b32 v[1:2], v3 offset1:8
	s_waitcnt lgkmcnt(0)
	v_max_i32_e32 v1, v1, v2
	ds_write_b32 v3, v1
.LBB0_16:
	s_or_b64 exec, exec, s[0:1]
	v_cmp_gt_u32_e32 vcc, 4, v0
	s_waitcnt lgkmcnt(0)
	s_barrier
	s_and_saveexec_b64 s[0:1], vcc
	s_cbranch_execz .LBB0_18
; %bb.17:
	ds_read2_b32 v[1:2], v3 offset1:4
	s_waitcnt lgkmcnt(0)
	v_max_i32_e32 v1, v1, v2
	ds_write_b32 v3, v1
.LBB0_18:
	s_or_b64 exec, exec, s[0:1]
	v_cmp_gt_u32_e32 vcc, 2, v0
	s_waitcnt lgkmcnt(0)
	s_barrier
	s_and_saveexec_b64 s[0:1], vcc
	s_cbranch_execz .LBB0_20
; %bb.19:
	ds_read2_b32 v[1:2], v3 offset1:2
	s_waitcnt lgkmcnt(0)
	v_max_i32_e32 v1, v1, v2
	ds_write_b32 v3, v1
.LBB0_20:
	s_or_b64 exec, exec, s[0:1]
	v_cmp_eq_u32_e32 vcc, 0, v0
	s_waitcnt lgkmcnt(0)
	s_barrier
	s_and_saveexec_b64 s[0:1], vcc
	s_cbranch_execz .LBB0_22
; %bb.21:
	v_mov_b32_e32 v2, 0
	ds_read_b64 v[0:1], v2
	s_waitcnt lgkmcnt(0)
	v_max_i32_e32 v0, v0, v1
	ds_write_b32 v2, v0
.LBB0_22:
	s_or_b64 exec, exec, s[0:1]
	s_waitcnt lgkmcnt(0)
	s_barrier
	s_and_saveexec_b64 s[0:1], vcc
	s_cbranch_execz .LBB0_24
; %bb.23:
	v_mov_b32_e32 v0, 0
	ds_read_b32 v1, v0
	s_mov_b32 s7, 0
	s_lshl_b64 s[0:1], s[6:7], 2
	s_add_u32 s0, s2, s0
	s_addc_u32 s1, s3, s1
	s_waitcnt lgkmcnt(0)
	global_store_dword v0, v1, s[0:1]
.LBB0_24:
	s_endpgm
	.section	.rodata,"a",@progbits
	.p2align	6, 0x0
	.amdhsa_kernel _ZN9rocsparseL22ell_width_kernel_part1ILj512EiiEEvT1_PKT0_PS1_
		.amdhsa_group_segment_fixed_size 2048
		.amdhsa_private_segment_fixed_size 0
		.amdhsa_kernarg_size 280
		.amdhsa_user_sgpr_count 6
		.amdhsa_user_sgpr_private_segment_buffer 1
		.amdhsa_user_sgpr_dispatch_ptr 0
		.amdhsa_user_sgpr_queue_ptr 0
		.amdhsa_user_sgpr_kernarg_segment_ptr 1
		.amdhsa_user_sgpr_dispatch_id 0
		.amdhsa_user_sgpr_flat_scratch_init 0
		.amdhsa_user_sgpr_private_segment_size 0
		.amdhsa_uses_dynamic_stack 0
		.amdhsa_system_sgpr_private_segment_wavefront_offset 0
		.amdhsa_system_sgpr_workgroup_id_x 1
		.amdhsa_system_sgpr_workgroup_id_y 0
		.amdhsa_system_sgpr_workgroup_id_z 0
		.amdhsa_system_sgpr_workgroup_info 0
		.amdhsa_system_vgpr_workitem_id 0
		.amdhsa_next_free_vgpr 8
		.amdhsa_next_free_sgpr 11
		.amdhsa_reserve_vcc 1
		.amdhsa_reserve_flat_scratch 0
		.amdhsa_float_round_mode_32 0
		.amdhsa_float_round_mode_16_64 0
		.amdhsa_float_denorm_mode_32 3
		.amdhsa_float_denorm_mode_16_64 3
		.amdhsa_dx10_clamp 1
		.amdhsa_ieee_mode 1
		.amdhsa_fp16_overflow 0
		.amdhsa_exception_fp_ieee_invalid_op 0
		.amdhsa_exception_fp_denorm_src 0
		.amdhsa_exception_fp_ieee_div_zero 0
		.amdhsa_exception_fp_ieee_overflow 0
		.amdhsa_exception_fp_ieee_underflow 0
		.amdhsa_exception_fp_ieee_inexact 0
		.amdhsa_exception_int_div_zero 0
	.end_amdhsa_kernel
	.section	.text._ZN9rocsparseL22ell_width_kernel_part1ILj512EiiEEvT1_PKT0_PS1_,"axG",@progbits,_ZN9rocsparseL22ell_width_kernel_part1ILj512EiiEEvT1_PKT0_PS1_,comdat
.Lfunc_end0:
	.size	_ZN9rocsparseL22ell_width_kernel_part1ILj512EiiEEvT1_PKT0_PS1_, .Lfunc_end0-_ZN9rocsparseL22ell_width_kernel_part1ILj512EiiEEvT1_PKT0_PS1_
                                        ; -- End function
	.set _ZN9rocsparseL22ell_width_kernel_part1ILj512EiiEEvT1_PKT0_PS1_.num_vgpr, 8
	.set _ZN9rocsparseL22ell_width_kernel_part1ILj512EiiEEvT1_PKT0_PS1_.num_agpr, 0
	.set _ZN9rocsparseL22ell_width_kernel_part1ILj512EiiEEvT1_PKT0_PS1_.numbered_sgpr, 11
	.set _ZN9rocsparseL22ell_width_kernel_part1ILj512EiiEEvT1_PKT0_PS1_.num_named_barrier, 0
	.set _ZN9rocsparseL22ell_width_kernel_part1ILj512EiiEEvT1_PKT0_PS1_.private_seg_size, 0
	.set _ZN9rocsparseL22ell_width_kernel_part1ILj512EiiEEvT1_PKT0_PS1_.uses_vcc, 1
	.set _ZN9rocsparseL22ell_width_kernel_part1ILj512EiiEEvT1_PKT0_PS1_.uses_flat_scratch, 0
	.set _ZN9rocsparseL22ell_width_kernel_part1ILj512EiiEEvT1_PKT0_PS1_.has_dyn_sized_stack, 0
	.set _ZN9rocsparseL22ell_width_kernel_part1ILj512EiiEEvT1_PKT0_PS1_.has_recursion, 0
	.set _ZN9rocsparseL22ell_width_kernel_part1ILj512EiiEEvT1_PKT0_PS1_.has_indirect_call, 0
	.section	.AMDGPU.csdata,"",@progbits
; Kernel info:
; codeLenInByte = 660
; TotalNumSgprs: 15
; NumVgprs: 8
; ScratchSize: 0
; MemoryBound: 0
; FloatMode: 240
; IeeeMode: 1
; LDSByteSize: 2048 bytes/workgroup (compile time only)
; SGPRBlocks: 1
; VGPRBlocks: 1
; NumSGPRsForWavesPerEU: 15
; NumVGPRsForWavesPerEU: 8
; Occupancy: 10
; WaveLimiterHint : 0
; COMPUTE_PGM_RSRC2:SCRATCH_EN: 0
; COMPUTE_PGM_RSRC2:USER_SGPR: 6
; COMPUTE_PGM_RSRC2:TRAP_HANDLER: 0
; COMPUTE_PGM_RSRC2:TGID_X_EN: 1
; COMPUTE_PGM_RSRC2:TGID_Y_EN: 0
; COMPUTE_PGM_RSRC2:TGID_Z_EN: 0
; COMPUTE_PGM_RSRC2:TIDIG_COMP_CNT: 0
	.section	.text._ZN9rocsparseL22ell_width_kernel_part2ILj512EiEEvT0_PS1_,"axG",@progbits,_ZN9rocsparseL22ell_width_kernel_part2ILj512EiEEvT0_PS1_,comdat
	.globl	_ZN9rocsparseL22ell_width_kernel_part2ILj512EiEEvT0_PS1_ ; -- Begin function _ZN9rocsparseL22ell_width_kernel_part2ILj512EiEEvT0_PS1_
	.p2align	8
	.type	_ZN9rocsparseL22ell_width_kernel_part2ILj512EiEEvT0_PS1_,@function
_ZN9rocsparseL22ell_width_kernel_part2ILj512EiEEvT0_PS1_: ; @_ZN9rocsparseL22ell_width_kernel_part2ILj512EiEEvT0_PS1_
; %bb.0:
	s_load_dword s6, s[4:5], 0x0
	s_load_dwordx2 s[0:1], s[4:5], 0x8
	v_lshlrev_b32_e32 v3, 2, v0
	v_mov_b32_e32 v4, 0
	ds_write_b32 v3, v4
	s_waitcnt lgkmcnt(0)
	v_cmp_gt_u32_e32 vcc, s6, v0
	s_and_saveexec_b64 s[2:3], vcc
	s_cbranch_execz .LBB1_4
; %bb.1:
	v_mov_b32_e32 v2, s1
	v_add_co_u32_e32 v1, vcc, s0, v3
	v_addc_co_u32_e32 v2, vcc, 0, v2, vcc
	s_mov_b64 s[4:5], 0
	v_mov_b32_e32 v5, v0
.LBB1_2:                                ; =>This Inner Loop Header: Depth=1
	global_load_dword v6, v[1:2], off
	v_add_co_u32_e32 v1, vcc, 0x800, v1
	v_add_u32_e32 v5, 0x200, v5
	v_addc_co_u32_e32 v2, vcc, 0, v2, vcc
	v_cmp_le_u32_e32 vcc, s6, v5
	s_or_b64 s[4:5], vcc, s[4:5]
	s_waitcnt vmcnt(0)
	v_max_i32_e32 v4, v4, v6
	s_andn2_b64 exec, exec, s[4:5]
	s_cbranch_execnz .LBB1_2
; %bb.3:
	s_or_b64 exec, exec, s[4:5]
	ds_write_b32 v3, v4
.LBB1_4:
	s_or_b64 exec, exec, s[2:3]
	s_movk_i32 s2, 0x100
	v_cmp_gt_u32_e32 vcc, s2, v0
	s_waitcnt lgkmcnt(0)
	s_barrier
	s_and_saveexec_b64 s[2:3], vcc
	s_cbranch_execz .LBB1_6
; %bb.5:
	ds_read2st64_b32 v[1:2], v3 offset1:4
	s_waitcnt lgkmcnt(0)
	v_max_i32_e32 v1, v1, v2
	ds_write_b32 v3, v1
.LBB1_6:
	s_or_b64 exec, exec, s[2:3]
	s_movk_i32 s2, 0x80
	v_cmp_gt_u32_e32 vcc, s2, v0
	s_waitcnt lgkmcnt(0)
	s_barrier
	s_and_saveexec_b64 s[2:3], vcc
	s_cbranch_execz .LBB1_8
; %bb.7:
	ds_read2st64_b32 v[1:2], v3 offset1:2
	s_waitcnt lgkmcnt(0)
	v_max_i32_e32 v1, v1, v2
	ds_write_b32 v3, v1
.LBB1_8:
	s_or_b64 exec, exec, s[2:3]
	v_cmp_gt_u32_e32 vcc, 64, v0
	s_waitcnt lgkmcnt(0)
	s_barrier
	s_and_saveexec_b64 s[2:3], vcc
	s_cbranch_execz .LBB1_10
; %bb.9:
	ds_read2st64_b32 v[1:2], v3 offset1:1
	s_waitcnt lgkmcnt(0)
	v_max_i32_e32 v1, v1, v2
	ds_write_b32 v3, v1
.LBB1_10:
	s_or_b64 exec, exec, s[2:3]
	v_cmp_gt_u32_e32 vcc, 32, v0
	s_waitcnt lgkmcnt(0)
	s_barrier
	s_and_saveexec_b64 s[2:3], vcc
	s_cbranch_execz .LBB1_12
; %bb.11:
	ds_read2_b32 v[1:2], v3 offset1:32
	s_waitcnt lgkmcnt(0)
	v_max_i32_e32 v1, v1, v2
	ds_write_b32 v3, v1
.LBB1_12:
	s_or_b64 exec, exec, s[2:3]
	v_cmp_gt_u32_e32 vcc, 16, v0
	s_waitcnt lgkmcnt(0)
	s_barrier
	s_and_saveexec_b64 s[2:3], vcc
	s_cbranch_execz .LBB1_14
; %bb.13:
	ds_read2_b32 v[1:2], v3 offset1:16
	s_waitcnt lgkmcnt(0)
	v_max_i32_e32 v1, v1, v2
	ds_write_b32 v3, v1
.LBB1_14:
	;; [unrolled: 12-line block ×5, first 2 shown]
	s_or_b64 exec, exec, s[2:3]
	v_cmp_eq_u32_e32 vcc, 0, v0
	s_waitcnt lgkmcnt(0)
	s_barrier
	s_and_saveexec_b64 s[2:3], vcc
	s_cbranch_execz .LBB1_22
; %bb.21:
	v_mov_b32_e32 v2, 0
	ds_read_b64 v[0:1], v2
	s_waitcnt lgkmcnt(0)
	v_max_i32_e32 v0, v0, v1
	ds_write_b32 v2, v0
.LBB1_22:
	s_or_b64 exec, exec, s[2:3]
	s_waitcnt lgkmcnt(0)
	s_barrier
	s_and_saveexec_b64 s[2:3], vcc
	s_cbranch_execz .LBB1_24
; %bb.23:
	v_mov_b32_e32 v0, 0
	ds_read_b32 v1, v0
	s_waitcnt lgkmcnt(0)
	global_store_dword v0, v1, s[0:1]
.LBB1_24:
	s_endpgm
	.section	.rodata,"a",@progbits
	.p2align	6, 0x0
	.amdhsa_kernel _ZN9rocsparseL22ell_width_kernel_part2ILj512EiEEvT0_PS1_
		.amdhsa_group_segment_fixed_size 2048
		.amdhsa_private_segment_fixed_size 0
		.amdhsa_kernarg_size 16
		.amdhsa_user_sgpr_count 6
		.amdhsa_user_sgpr_private_segment_buffer 1
		.amdhsa_user_sgpr_dispatch_ptr 0
		.amdhsa_user_sgpr_queue_ptr 0
		.amdhsa_user_sgpr_kernarg_segment_ptr 1
		.amdhsa_user_sgpr_dispatch_id 0
		.amdhsa_user_sgpr_flat_scratch_init 0
		.amdhsa_user_sgpr_private_segment_size 0
		.amdhsa_uses_dynamic_stack 0
		.amdhsa_system_sgpr_private_segment_wavefront_offset 0
		.amdhsa_system_sgpr_workgroup_id_x 1
		.amdhsa_system_sgpr_workgroup_id_y 0
		.amdhsa_system_sgpr_workgroup_id_z 0
		.amdhsa_system_sgpr_workgroup_info 0
		.amdhsa_system_vgpr_workitem_id 0
		.amdhsa_next_free_vgpr 7
		.amdhsa_next_free_sgpr 7
		.amdhsa_reserve_vcc 1
		.amdhsa_reserve_flat_scratch 0
		.amdhsa_float_round_mode_32 0
		.amdhsa_float_round_mode_16_64 0
		.amdhsa_float_denorm_mode_32 3
		.amdhsa_float_denorm_mode_16_64 3
		.amdhsa_dx10_clamp 1
		.amdhsa_ieee_mode 1
		.amdhsa_fp16_overflow 0
		.amdhsa_exception_fp_ieee_invalid_op 0
		.amdhsa_exception_fp_denorm_src 0
		.amdhsa_exception_fp_ieee_div_zero 0
		.amdhsa_exception_fp_ieee_overflow 0
		.amdhsa_exception_fp_ieee_underflow 0
		.amdhsa_exception_fp_ieee_inexact 0
		.amdhsa_exception_int_div_zero 0
	.end_amdhsa_kernel
	.section	.text._ZN9rocsparseL22ell_width_kernel_part2ILj512EiEEvT0_PS1_,"axG",@progbits,_ZN9rocsparseL22ell_width_kernel_part2ILj512EiEEvT0_PS1_,comdat
.Lfunc_end1:
	.size	_ZN9rocsparseL22ell_width_kernel_part2ILj512EiEEvT0_PS1_, .Lfunc_end1-_ZN9rocsparseL22ell_width_kernel_part2ILj512EiEEvT0_PS1_
                                        ; -- End function
	.set _ZN9rocsparseL22ell_width_kernel_part2ILj512EiEEvT0_PS1_.num_vgpr, 7
	.set _ZN9rocsparseL22ell_width_kernel_part2ILj512EiEEvT0_PS1_.num_agpr, 0
	.set _ZN9rocsparseL22ell_width_kernel_part2ILj512EiEEvT0_PS1_.numbered_sgpr, 7
	.set _ZN9rocsparseL22ell_width_kernel_part2ILj512EiEEvT0_PS1_.num_named_barrier, 0
	.set _ZN9rocsparseL22ell_width_kernel_part2ILj512EiEEvT0_PS1_.private_seg_size, 0
	.set _ZN9rocsparseL22ell_width_kernel_part2ILj512EiEEvT0_PS1_.uses_vcc, 1
	.set _ZN9rocsparseL22ell_width_kernel_part2ILj512EiEEvT0_PS1_.uses_flat_scratch, 0
	.set _ZN9rocsparseL22ell_width_kernel_part2ILj512EiEEvT0_PS1_.has_dyn_sized_stack, 0
	.set _ZN9rocsparseL22ell_width_kernel_part2ILj512EiEEvT0_PS1_.has_recursion, 0
	.set _ZN9rocsparseL22ell_width_kernel_part2ILj512EiEEvT0_PS1_.has_indirect_call, 0
	.section	.AMDGPU.csdata,"",@progbits
; Kernel info:
; codeLenInByte = 624
; TotalNumSgprs: 11
; NumVgprs: 7
; ScratchSize: 0
; MemoryBound: 0
; FloatMode: 240
; IeeeMode: 1
; LDSByteSize: 2048 bytes/workgroup (compile time only)
; SGPRBlocks: 1
; VGPRBlocks: 1
; NumSGPRsForWavesPerEU: 11
; NumVGPRsForWavesPerEU: 7
; Occupancy: 10
; WaveLimiterHint : 0
; COMPUTE_PGM_RSRC2:SCRATCH_EN: 0
; COMPUTE_PGM_RSRC2:USER_SGPR: 6
; COMPUTE_PGM_RSRC2:TRAP_HANDLER: 0
; COMPUTE_PGM_RSRC2:TGID_X_EN: 1
; COMPUTE_PGM_RSRC2:TGID_Y_EN: 0
; COMPUTE_PGM_RSRC2:TGID_Z_EN: 0
; COMPUTE_PGM_RSRC2:TIDIG_COMP_CNT: 0
	.section	.text._ZN9rocsparseL11hyb_coo_nnzILj512EEEviiPKiPi21rocsparse_index_base_,"axG",@progbits,_ZN9rocsparseL11hyb_coo_nnzILj512EEEviiPKiPi21rocsparse_index_base_,comdat
	.globl	_ZN9rocsparseL11hyb_coo_nnzILj512EEEviiPKiPi21rocsparse_index_base_ ; -- Begin function _ZN9rocsparseL11hyb_coo_nnzILj512EEEviiPKiPi21rocsparse_index_base_
	.p2align	8
	.type	_ZN9rocsparseL11hyb_coo_nnzILj512EEEviiPKiPi21rocsparse_index_base_,@function
_ZN9rocsparseL11hyb_coo_nnzILj512EEEviiPKiPi21rocsparse_index_base_: ; @_ZN9rocsparseL11hyb_coo_nnzILj512EEEviiPKiPi21rocsparse_index_base_
; %bb.0:
	s_load_dwordx2 s[8:9], s[4:5], 0x0
	s_load_dwordx4 s[0:3], s[4:5], 0x8
	v_lshl_or_b32 v0, s6, 9, v0
	s_waitcnt lgkmcnt(0)
	v_cmp_gt_i32_e32 vcc, s8, v0
	s_and_saveexec_b64 s[6:7], vcc
	s_cbranch_execnz .LBB2_3
; %bb.1:
	s_or_b64 exec, exec, s[6:7]
	v_cmp_eq_u32_e32 vcc, 0, v0
	s_and_saveexec_b64 s[0:1], vcc
	s_cbranch_execnz .LBB2_4
.LBB2_2:
	s_endpgm
.LBB2_3:
	v_ashrrev_i32_e32 v1, 31, v0
	v_lshlrev_b64 v[1:2], 2, v[0:1]
	v_mov_b32_e32 v4, s1
	v_add_co_u32_e32 v3, vcc, s0, v1
	v_addc_co_u32_e32 v4, vcc, v4, v2, vcc
	global_load_dwordx2 v[3:4], v[3:4], off
	v_mov_b32_e32 v5, s3
	s_waitcnt vmcnt(0)
	v_sub_u32_e32 v3, v4, v3
	v_subrev_u32_e32 v4, s9, v3
	v_cmp_lt_i32_e32 vcc, s9, v3
	v_cndmask_b32_e32 v3, 0, v4, vcc
	v_add_co_u32_e32 v1, vcc, s2, v1
	v_addc_co_u32_e32 v2, vcc, v5, v2, vcc
	global_store_dword v[1:2], v3, off offset:4
	s_or_b64 exec, exec, s[6:7]
	v_cmp_eq_u32_e32 vcc, 0, v0
	s_and_saveexec_b64 s[0:1], vcc
	s_cbranch_execz .LBB2_2
.LBB2_4:
	s_load_dword s0, s[4:5], 0x18
	v_mov_b32_e32 v0, 0
	s_waitcnt lgkmcnt(0)
	v_mov_b32_e32 v1, s0
	global_store_dword v0, v1, s[2:3]
	s_endpgm
	.section	.rodata,"a",@progbits
	.p2align	6, 0x0
	.amdhsa_kernel _ZN9rocsparseL11hyb_coo_nnzILj512EEEviiPKiPi21rocsparse_index_base_
		.amdhsa_group_segment_fixed_size 0
		.amdhsa_private_segment_fixed_size 0
		.amdhsa_kernarg_size 28
		.amdhsa_user_sgpr_count 6
		.amdhsa_user_sgpr_private_segment_buffer 1
		.amdhsa_user_sgpr_dispatch_ptr 0
		.amdhsa_user_sgpr_queue_ptr 0
		.amdhsa_user_sgpr_kernarg_segment_ptr 1
		.amdhsa_user_sgpr_dispatch_id 0
		.amdhsa_user_sgpr_flat_scratch_init 0
		.amdhsa_user_sgpr_private_segment_size 0
		.amdhsa_uses_dynamic_stack 0
		.amdhsa_system_sgpr_private_segment_wavefront_offset 0
		.amdhsa_system_sgpr_workgroup_id_x 1
		.amdhsa_system_sgpr_workgroup_id_y 0
		.amdhsa_system_sgpr_workgroup_id_z 0
		.amdhsa_system_sgpr_workgroup_info 0
		.amdhsa_system_vgpr_workitem_id 0
		.amdhsa_next_free_vgpr 6
		.amdhsa_next_free_sgpr 10
		.amdhsa_reserve_vcc 1
		.amdhsa_reserve_flat_scratch 0
		.amdhsa_float_round_mode_32 0
		.amdhsa_float_round_mode_16_64 0
		.amdhsa_float_denorm_mode_32 3
		.amdhsa_float_denorm_mode_16_64 3
		.amdhsa_dx10_clamp 1
		.amdhsa_ieee_mode 1
		.amdhsa_fp16_overflow 0
		.amdhsa_exception_fp_ieee_invalid_op 0
		.amdhsa_exception_fp_denorm_src 0
		.amdhsa_exception_fp_ieee_div_zero 0
		.amdhsa_exception_fp_ieee_overflow 0
		.amdhsa_exception_fp_ieee_underflow 0
		.amdhsa_exception_fp_ieee_inexact 0
		.amdhsa_exception_int_div_zero 0
	.end_amdhsa_kernel
	.section	.text._ZN9rocsparseL11hyb_coo_nnzILj512EEEviiPKiPi21rocsparse_index_base_,"axG",@progbits,_ZN9rocsparseL11hyb_coo_nnzILj512EEEviiPKiPi21rocsparse_index_base_,comdat
.Lfunc_end2:
	.size	_ZN9rocsparseL11hyb_coo_nnzILj512EEEviiPKiPi21rocsparse_index_base_, .Lfunc_end2-_ZN9rocsparseL11hyb_coo_nnzILj512EEEviiPKiPi21rocsparse_index_base_
                                        ; -- End function
	.set _ZN9rocsparseL11hyb_coo_nnzILj512EEEviiPKiPi21rocsparse_index_base_.num_vgpr, 6
	.set _ZN9rocsparseL11hyb_coo_nnzILj512EEEviiPKiPi21rocsparse_index_base_.num_agpr, 0
	.set _ZN9rocsparseL11hyb_coo_nnzILj512EEEviiPKiPi21rocsparse_index_base_.numbered_sgpr, 10
	.set _ZN9rocsparseL11hyb_coo_nnzILj512EEEviiPKiPi21rocsparse_index_base_.num_named_barrier, 0
	.set _ZN9rocsparseL11hyb_coo_nnzILj512EEEviiPKiPi21rocsparse_index_base_.private_seg_size, 0
	.set _ZN9rocsparseL11hyb_coo_nnzILj512EEEviiPKiPi21rocsparse_index_base_.uses_vcc, 1
	.set _ZN9rocsparseL11hyb_coo_nnzILj512EEEviiPKiPi21rocsparse_index_base_.uses_flat_scratch, 0
	.set _ZN9rocsparseL11hyb_coo_nnzILj512EEEviiPKiPi21rocsparse_index_base_.has_dyn_sized_stack, 0
	.set _ZN9rocsparseL11hyb_coo_nnzILj512EEEviiPKiPi21rocsparse_index_base_.has_recursion, 0
	.set _ZN9rocsparseL11hyb_coo_nnzILj512EEEviiPKiPi21rocsparse_index_base_.has_indirect_call, 0
	.section	.AMDGPU.csdata,"",@progbits
; Kernel info:
; codeLenInByte = 180
; TotalNumSgprs: 14
; NumVgprs: 6
; ScratchSize: 0
; MemoryBound: 0
; FloatMode: 240
; IeeeMode: 1
; LDSByteSize: 0 bytes/workgroup (compile time only)
; SGPRBlocks: 1
; VGPRBlocks: 1
; NumSGPRsForWavesPerEU: 14
; NumVGPRsForWavesPerEU: 6
; Occupancy: 10
; WaveLimiterHint : 0
; COMPUTE_PGM_RSRC2:SCRATCH_EN: 0
; COMPUTE_PGM_RSRC2:USER_SGPR: 6
; COMPUTE_PGM_RSRC2:TRAP_HANDLER: 0
; COMPUTE_PGM_RSRC2:TGID_X_EN: 1
; COMPUTE_PGM_RSRC2:TGID_Y_EN: 0
; COMPUTE_PGM_RSRC2:TGID_Z_EN: 0
; COMPUTE_PGM_RSRC2:TIDIG_COMP_CNT: 0
	.section	.text._ZN9rocsparseL14csr2hyb_kernelILj512EfEEviPKT0_PKiS5_iPiPS1_S6_S6_S7_S6_21rocsparse_index_base_,"axG",@progbits,_ZN9rocsparseL14csr2hyb_kernelILj512EfEEviPKT0_PKiS5_iPiPS1_S6_S6_S7_S6_21rocsparse_index_base_,comdat
	.globl	_ZN9rocsparseL14csr2hyb_kernelILj512EfEEviPKT0_PKiS5_iPiPS1_S6_S6_S7_S6_21rocsparse_index_base_ ; -- Begin function _ZN9rocsparseL14csr2hyb_kernelILj512EfEEviPKT0_PKiS5_iPiPS1_S6_S6_S7_S6_21rocsparse_index_base_
	.p2align	8
	.type	_ZN9rocsparseL14csr2hyb_kernelILj512EfEEviPKT0_PKiS5_iPiPS1_S6_S6_S7_S6_21rocsparse_index_base_,@function
_ZN9rocsparseL14csr2hyb_kernelILj512EfEEviPKT0_PKiS5_iPiPS1_S6_S6_S7_S6_21rocsparse_index_base_: ; @_ZN9rocsparseL14csr2hyb_kernelILj512EfEEviPKT0_PKiS5_iPiPS1_S6_S6_S7_S6_21rocsparse_index_base_
; %bb.0:
	s_load_dword s20, s[4:5], 0x0
	s_lshl_b32 s21, s6, 9
	v_or_b32_e32 v1, s21, v0
	s_waitcnt lgkmcnt(0)
	v_cmp_gt_i32_e32 vcc, s20, v1
	s_and_saveexec_b64 s[0:1], vcc
	s_cbranch_execz .LBB3_16
; %bb.1:
	s_load_dwordx4 s[16:19], s[4:5], 0x8
	v_ashrrev_i32_e32 v2, 31, v1
	v_lshlrev_b64 v[2:3], 2, v[1:2]
	s_waitcnt lgkmcnt(0)
	v_mov_b32_e32 v5, s19
	v_add_co_u32_e32 v4, vcc, s18, v2
	v_addc_co_u32_e32 v5, vcc, v5, v3, vcc
	global_load_dwordx2 v[5:6], v[4:5], off
	s_load_dwordx8 s[8:15], s[4:5], 0x28
	s_load_dwordx4 s[0:3], s[4:5], 0x48
	s_load_dword s6, s[4:5], 0x58
	s_waitcnt lgkmcnt(0)
	s_cmp_eq_u64 s[12:13], 0
	s_cbranch_scc1 .LBB3_3
; %bb.2:
	v_mov_b32_e32 v4, s3
	v_add_co_u32_e32 v2, vcc, s2, v2
	v_addc_co_u32_e32 v3, vcc, v4, v3, vcc
	global_load_dword v2, v[2:3], off
	s_waitcnt vmcnt(0)
	v_subrev_u32_e32 v2, s6, v2
	s_branch .LBB3_4
.LBB3_3:
	v_mov_b32_e32 v2, 0
.LBB3_4:
	s_load_dword s18, s[4:5], 0x20
	s_waitcnt vmcnt(0)
	v_subrev_u32_e32 v4, s6, v5
	v_subrev_u32_e32 v9, s6, v6
	v_cmp_lt_i32_e32 vcc, v5, v6
	s_and_saveexec_b64 s[2:3], vcc
	s_cbranch_execz .LBB3_12
; %bb.5:
	s_load_dwordx2 s[4:5], s[4:5], 0x18
	v_ashrrev_i32_e32 v5, 31, v4
	v_lshlrev_b64 v[7:8], 2, v[4:5]
	v_mov_b32_e32 v3, s17
	v_add_co_u32_e32 v5, vcc, s16, v7
	v_addc_co_u32_e32 v6, vcc, v3, v8, vcc
	s_waitcnt lgkmcnt(0)
	v_mov_b32_e32 v3, s5
	v_add_co_u32_e32 v7, vcc, s4, v7
	v_add_u32_e32 v10, s6, v1
	v_addc_co_u32_e32 v8, vcc, v3, v8, vcc
	s_mov_b32 s16, 0
	s_mov_b64 s[4:5], 0
	v_mov_b32_e32 v11, v4
	s_branch .LBB3_8
.LBB3_6:                                ;   in Loop: Header=BB3_8 Depth=1
	global_load_dword v3, v[7:8], off
	global_load_dword v16, v[5:6], off
	s_add_i32 s6, s16, 1
	s_mul_i32 s16, s16, s20
	v_add_u32_e32 v12, s16, v1
	v_ashrrev_i32_e32 v13, 31, v12
	v_lshlrev_b64 v[12:13], 2, v[12:13]
	v_mov_b32_e32 v15, s9
	v_add_co_u32_e32 v14, vcc, s8, v12
	v_addc_co_u32_e32 v15, vcc, v15, v13, vcc
	v_mov_b32_e32 v17, s11
	v_add_co_u32_e32 v12, vcc, s10, v12
	s_mov_b32 s16, s6
	v_addc_co_u32_e32 v13, vcc, v17, v13, vcc
	s_waitcnt vmcnt(1)
	global_store_dword v[14:15], v3, off
	s_waitcnt vmcnt(1)
	global_store_dword v[12:13], v16, off
.LBB3_7:                                ;   in Loop: Header=BB3_8 Depth=1
	v_add_co_u32_e32 v5, vcc, 4, v5
	v_add_u32_e32 v11, 1, v11
	v_addc_co_u32_e32 v6, vcc, 0, v6, vcc
	v_cmp_ge_i32_e32 vcc, v11, v9
	s_or_b64 s[4:5], vcc, s[4:5]
	v_add_co_u32_e32 v7, vcc, 4, v7
	v_addc_co_u32_e32 v8, vcc, 0, v8, vcc
	s_andn2_b64 exec, exec, s[4:5]
	s_cbranch_execz .LBB3_12
.LBB3_8:                                ; =>This Inner Loop Header: Depth=1
	s_cmp_ge_i32 s16, s18
	s_mov_b64 s[6:7], -1
                                        ; implicit-def: $vgpr3
	s_cbranch_scc0 .LBB3_10
; %bb.9:                                ;   in Loop: Header=BB3_8 Depth=1
	v_ashrrev_i32_e32 v3, 31, v2
	v_lshlrev_b64 v[12:13], 2, v[2:3]
	v_mov_b32_e32 v3, s13
	v_add_co_u32_e32 v14, vcc, s12, v12
	v_addc_co_u32_e32 v15, vcc, v3, v13, vcc
	global_store_dword v[14:15], v10, off
	global_load_dword v16, v[5:6], off
	global_load_dword v17, v[7:8], off
	v_mov_b32_e32 v15, s15
	v_add_co_u32_e32 v14, vcc, s14, v12
	v_addc_co_u32_e32 v15, vcc, v15, v13, vcc
	v_mov_b32_e32 v18, s1
	v_add_co_u32_e32 v12, vcc, s0, v12
	v_addc_co_u32_e32 v13, vcc, v18, v13, vcc
	v_add_u32_e32 v3, 1, v2
	s_mov_b64 s[6:7], 0
	s_waitcnt vmcnt(1)
	global_store_dword v[12:13], v16, off
	s_waitcnt vmcnt(1)
	global_store_dword v[14:15], v17, off
.LBB3_10:                               ;   in Loop: Header=BB3_8 Depth=1
	s_andn2_b64 vcc, exec, s[6:7]
	s_cbranch_vccz .LBB3_6
; %bb.11:                               ;   in Loop: Header=BB3_8 Depth=1
	v_mov_b32_e32 v2, v3
	s_branch .LBB3_7
.LBB3_12:
	s_or_b64 exec, exec, s[2:3]
; %bb.13:
	v_sub_u32_e32 v2, v9, v4
	s_waitcnt lgkmcnt(0)
	v_cmp_gt_i32_e32 vcc, s18, v2
	s_and_b64 exec, exec, vcc
	s_cbranch_execz .LBB3_16
; %bb.14:
	v_mul_lo_u32 v1, s20, v2
	s_mov_b64 s[0:1], 0
	v_mov_b32_e32 v3, s9
	v_mov_b32_e32 v4, -1
	v_add3_u32 v0, v0, v1, s21
	v_mov_b32_e32 v5, s11
	v_mov_b32_e32 v6, 0
.LBB3_15:                               ; =>This Inner Loop Header: Depth=1
	v_ashrrev_i32_e32 v1, 31, v0
	v_lshlrev_b64 v[7:8], 2, v[0:1]
	v_add_u32_e32 v2, 1, v2
	v_add_co_u32_e32 v9, vcc, s8, v7
	v_addc_co_u32_e32 v10, vcc, v3, v8, vcc
	v_add_co_u32_e32 v7, vcc, s10, v7
	v_addc_co_u32_e32 v8, vcc, v5, v8, vcc
	v_cmp_le_i32_e32 vcc, s18, v2
	s_or_b64 s[0:1], vcc, s[0:1]
	v_add_u32_e32 v0, s20, v0
	global_store_dword v[9:10], v4, off
	global_store_dword v[7:8], v6, off
	s_andn2_b64 exec, exec, s[0:1]
	s_cbranch_execnz .LBB3_15
.LBB3_16:
	s_endpgm
	.section	.rodata,"a",@progbits
	.p2align	6, 0x0
	.amdhsa_kernel _ZN9rocsparseL14csr2hyb_kernelILj512EfEEviPKT0_PKiS5_iPiPS1_S6_S6_S7_S6_21rocsparse_index_base_
		.amdhsa_group_segment_fixed_size 0
		.amdhsa_private_segment_fixed_size 0
		.amdhsa_kernarg_size 92
		.amdhsa_user_sgpr_count 6
		.amdhsa_user_sgpr_private_segment_buffer 1
		.amdhsa_user_sgpr_dispatch_ptr 0
		.amdhsa_user_sgpr_queue_ptr 0
		.amdhsa_user_sgpr_kernarg_segment_ptr 1
		.amdhsa_user_sgpr_dispatch_id 0
		.amdhsa_user_sgpr_flat_scratch_init 0
		.amdhsa_user_sgpr_private_segment_size 0
		.amdhsa_uses_dynamic_stack 0
		.amdhsa_system_sgpr_private_segment_wavefront_offset 0
		.amdhsa_system_sgpr_workgroup_id_x 1
		.amdhsa_system_sgpr_workgroup_id_y 0
		.amdhsa_system_sgpr_workgroup_id_z 0
		.amdhsa_system_sgpr_workgroup_info 0
		.amdhsa_system_vgpr_workitem_id 0
		.amdhsa_next_free_vgpr 19
		.amdhsa_next_free_sgpr 22
		.amdhsa_reserve_vcc 1
		.amdhsa_reserve_flat_scratch 0
		.amdhsa_float_round_mode_32 0
		.amdhsa_float_round_mode_16_64 0
		.amdhsa_float_denorm_mode_32 3
		.amdhsa_float_denorm_mode_16_64 3
		.amdhsa_dx10_clamp 1
		.amdhsa_ieee_mode 1
		.amdhsa_fp16_overflow 0
		.amdhsa_exception_fp_ieee_invalid_op 0
		.amdhsa_exception_fp_denorm_src 0
		.amdhsa_exception_fp_ieee_div_zero 0
		.amdhsa_exception_fp_ieee_overflow 0
		.amdhsa_exception_fp_ieee_underflow 0
		.amdhsa_exception_fp_ieee_inexact 0
		.amdhsa_exception_int_div_zero 0
	.end_amdhsa_kernel
	.section	.text._ZN9rocsparseL14csr2hyb_kernelILj512EfEEviPKT0_PKiS5_iPiPS1_S6_S6_S7_S6_21rocsparse_index_base_,"axG",@progbits,_ZN9rocsparseL14csr2hyb_kernelILj512EfEEviPKT0_PKiS5_iPiPS1_S6_S6_S7_S6_21rocsparse_index_base_,comdat
.Lfunc_end3:
	.size	_ZN9rocsparseL14csr2hyb_kernelILj512EfEEviPKT0_PKiS5_iPiPS1_S6_S6_S7_S6_21rocsparse_index_base_, .Lfunc_end3-_ZN9rocsparseL14csr2hyb_kernelILj512EfEEviPKT0_PKiS5_iPiPS1_S6_S6_S7_S6_21rocsparse_index_base_
                                        ; -- End function
	.set _ZN9rocsparseL14csr2hyb_kernelILj512EfEEviPKT0_PKiS5_iPiPS1_S6_S6_S7_S6_21rocsparse_index_base_.num_vgpr, 19
	.set _ZN9rocsparseL14csr2hyb_kernelILj512EfEEviPKT0_PKiS5_iPiPS1_S6_S6_S7_S6_21rocsparse_index_base_.num_agpr, 0
	.set _ZN9rocsparseL14csr2hyb_kernelILj512EfEEviPKT0_PKiS5_iPiPS1_S6_S6_S7_S6_21rocsparse_index_base_.numbered_sgpr, 22
	.set _ZN9rocsparseL14csr2hyb_kernelILj512EfEEviPKT0_PKiS5_iPiPS1_S6_S6_S7_S6_21rocsparse_index_base_.num_named_barrier, 0
	.set _ZN9rocsparseL14csr2hyb_kernelILj512EfEEviPKT0_PKiS5_iPiPS1_S6_S6_S7_S6_21rocsparse_index_base_.private_seg_size, 0
	.set _ZN9rocsparseL14csr2hyb_kernelILj512EfEEviPKT0_PKiS5_iPiPS1_S6_S6_S7_S6_21rocsparse_index_base_.uses_vcc, 1
	.set _ZN9rocsparseL14csr2hyb_kernelILj512EfEEviPKT0_PKiS5_iPiPS1_S6_S6_S7_S6_21rocsparse_index_base_.uses_flat_scratch, 0
	.set _ZN9rocsparseL14csr2hyb_kernelILj512EfEEviPKT0_PKiS5_iPiPS1_S6_S6_S7_S6_21rocsparse_index_base_.has_dyn_sized_stack, 0
	.set _ZN9rocsparseL14csr2hyb_kernelILj512EfEEviPKT0_PKiS5_iPiPS1_S6_S6_S7_S6_21rocsparse_index_base_.has_recursion, 0
	.set _ZN9rocsparseL14csr2hyb_kernelILj512EfEEviPKT0_PKiS5_iPiPS1_S6_S6_S7_S6_21rocsparse_index_base_.has_indirect_call, 0
	.section	.AMDGPU.csdata,"",@progbits
; Kernel info:
; codeLenInByte = 640
; TotalNumSgprs: 26
; NumVgprs: 19
; ScratchSize: 0
; MemoryBound: 0
; FloatMode: 240
; IeeeMode: 1
; LDSByteSize: 0 bytes/workgroup (compile time only)
; SGPRBlocks: 3
; VGPRBlocks: 4
; NumSGPRsForWavesPerEU: 26
; NumVGPRsForWavesPerEU: 19
; Occupancy: 10
; WaveLimiterHint : 0
; COMPUTE_PGM_RSRC2:SCRATCH_EN: 0
; COMPUTE_PGM_RSRC2:USER_SGPR: 6
; COMPUTE_PGM_RSRC2:TRAP_HANDLER: 0
; COMPUTE_PGM_RSRC2:TGID_X_EN: 1
; COMPUTE_PGM_RSRC2:TGID_Y_EN: 0
; COMPUTE_PGM_RSRC2:TGID_Z_EN: 0
; COMPUTE_PGM_RSRC2:TIDIG_COMP_CNT: 0
	.section	.text._ZN9rocsparseL14csr2hyb_kernelILj512EdEEviPKT0_PKiS5_iPiPS1_S6_S6_S7_S6_21rocsparse_index_base_,"axG",@progbits,_ZN9rocsparseL14csr2hyb_kernelILj512EdEEviPKT0_PKiS5_iPiPS1_S6_S6_S7_S6_21rocsparse_index_base_,comdat
	.globl	_ZN9rocsparseL14csr2hyb_kernelILj512EdEEviPKT0_PKiS5_iPiPS1_S6_S6_S7_S6_21rocsparse_index_base_ ; -- Begin function _ZN9rocsparseL14csr2hyb_kernelILj512EdEEviPKT0_PKiS5_iPiPS1_S6_S6_S7_S6_21rocsparse_index_base_
	.p2align	8
	.type	_ZN9rocsparseL14csr2hyb_kernelILj512EdEEviPKT0_PKiS5_iPiPS1_S6_S6_S7_S6_21rocsparse_index_base_,@function
_ZN9rocsparseL14csr2hyb_kernelILj512EdEEviPKT0_PKiS5_iPiPS1_S6_S6_S7_S6_21rocsparse_index_base_: ; @_ZN9rocsparseL14csr2hyb_kernelILj512EdEEviPKT0_PKiS5_iPiPS1_S6_S6_S7_S6_21rocsparse_index_base_
; %bb.0:
	s_load_dword s20, s[4:5], 0x0
	s_lshl_b32 s21, s6, 9
	v_or_b32_e32 v1, s21, v0
	s_waitcnt lgkmcnt(0)
	v_cmp_gt_i32_e32 vcc, s20, v1
	s_and_saveexec_b64 s[0:1], vcc
	s_cbranch_execz .LBB4_16
; %bb.1:
	s_load_dwordx4 s[16:19], s[4:5], 0x8
	v_ashrrev_i32_e32 v2, 31, v1
	v_lshlrev_b64 v[2:3], 2, v[1:2]
	s_waitcnt lgkmcnt(0)
	v_mov_b32_e32 v5, s19
	v_add_co_u32_e32 v4, vcc, s18, v2
	v_addc_co_u32_e32 v5, vcc, v5, v3, vcc
	global_load_dwordx2 v[5:6], v[4:5], off
	s_load_dwordx8 s[8:15], s[4:5], 0x28
	s_load_dwordx4 s[0:3], s[4:5], 0x48
	s_load_dword s6, s[4:5], 0x58
	s_waitcnt lgkmcnt(0)
	s_cmp_eq_u64 s[12:13], 0
	s_cbranch_scc1 .LBB4_3
; %bb.2:
	v_mov_b32_e32 v4, s3
	v_add_co_u32_e32 v2, vcc, s2, v2
	v_addc_co_u32_e32 v3, vcc, v4, v3, vcc
	global_load_dword v2, v[2:3], off
	s_waitcnt vmcnt(0)
	v_subrev_u32_e32 v2, s6, v2
	s_branch .LBB4_4
.LBB4_3:
	v_mov_b32_e32 v2, 0
.LBB4_4:
	s_load_dword s18, s[4:5], 0x20
	s_waitcnt vmcnt(0)
	v_subrev_u32_e32 v4, s6, v5
	v_subrev_u32_e32 v10, s6, v6
	v_cmp_lt_i32_e32 vcc, v5, v6
	s_and_saveexec_b64 s[2:3], vcc
	s_cbranch_execz .LBB4_12
; %bb.5:
	s_load_dwordx2 s[4:5], s[4:5], 0x18
	v_ashrrev_i32_e32 v5, 31, v4
	v_lshlrev_b64 v[6:7], 3, v[4:5]
	v_mov_b32_e32 v3, s17
	v_add_co_u32_e32 v6, vcc, s16, v6
	v_lshlrev_b64 v[8:9], 2, v[4:5]
	v_addc_co_u32_e32 v7, vcc, v3, v7, vcc
	s_waitcnt lgkmcnt(0)
	v_mov_b32_e32 v3, s5
	v_add_co_u32_e32 v8, vcc, s4, v8
	v_add_u32_e32 v11, s6, v1
	v_addc_co_u32_e32 v9, vcc, v3, v9, vcc
	s_mov_b32 s16, 0
	s_mov_b64 s[4:5], 0
	v_mov_b32_e32 v5, v4
	s_branch .LBB4_8
.LBB4_6:                                ;   in Loop: Header=BB4_8 Depth=1
	global_load_dword v3, v[8:9], off
	global_load_dwordx2 v[12:13], v[6:7], off
	s_add_i32 s6, s16, 1
	s_mul_i32 s16, s16, s20
	v_add_u32_e32 v14, s16, v1
	v_ashrrev_i32_e32 v15, 31, v14
	v_lshlrev_b64 v[16:17], 2, v[14:15]
	v_mov_b32_e32 v18, s9
	v_lshlrev_b64 v[14:15], 3, v[14:15]
	v_add_co_u32_e32 v16, vcc, s8, v16
	v_addc_co_u32_e32 v17, vcc, v18, v17, vcc
	v_mov_b32_e32 v19, s11
	v_add_co_u32_e32 v14, vcc, s10, v14
	s_mov_b32 s16, s6
	v_addc_co_u32_e32 v15, vcc, v19, v15, vcc
	s_waitcnt vmcnt(1)
	global_store_dword v[16:17], v3, off
	s_waitcnt vmcnt(1)
	global_store_dwordx2 v[14:15], v[12:13], off
.LBB4_7:                                ;   in Loop: Header=BB4_8 Depth=1
	v_add_co_u32_e32 v6, vcc, 8, v6
	v_add_u32_e32 v5, 1, v5
	v_addc_co_u32_e32 v7, vcc, 0, v7, vcc
	v_cmp_ge_i32_e32 vcc, v5, v10
	s_or_b64 s[4:5], vcc, s[4:5]
	v_add_co_u32_e32 v8, vcc, 4, v8
	v_addc_co_u32_e32 v9, vcc, 0, v9, vcc
	s_andn2_b64 exec, exec, s[4:5]
	s_cbranch_execz .LBB4_12
.LBB4_8:                                ; =>This Inner Loop Header: Depth=1
	s_cmp_ge_i32 s16, s18
	s_mov_b64 s[6:7], -1
                                        ; implicit-def: $vgpr12
	s_cbranch_scc0 .LBB4_10
; %bb.9:                                ;   in Loop: Header=BB4_8 Depth=1
	v_ashrrev_i32_e32 v3, 31, v2
	v_lshlrev_b64 v[13:14], 2, v[2:3]
	v_mov_b32_e32 v12, s13
	v_add_co_u32_e32 v15, vcc, s12, v13
	v_addc_co_u32_e32 v16, vcc, v12, v14, vcc
	global_store_dword v[15:16], v11, off
	global_load_dwordx2 v[15:16], v[6:7], off
	s_nop 0
	global_load_dword v19, v[8:9], off
	v_mov_b32_e32 v20, s15
	v_lshlrev_b64 v[17:18], 3, v[2:3]
	v_add_co_u32_e32 v13, vcc, s14, v13
	v_addc_co_u32_e32 v14, vcc, v20, v14, vcc
	v_mov_b32_e32 v21, s1
	v_add_co_u32_e32 v17, vcc, s0, v17
	v_addc_co_u32_e32 v18, vcc, v21, v18, vcc
	v_add_u32_e32 v12, 1, v2
	s_mov_b64 s[6:7], 0
	s_waitcnt vmcnt(1)
	global_store_dwordx2 v[17:18], v[15:16], off
	s_waitcnt vmcnt(1)
	global_store_dword v[13:14], v19, off
.LBB4_10:                               ;   in Loop: Header=BB4_8 Depth=1
	s_andn2_b64 vcc, exec, s[6:7]
	s_cbranch_vccz .LBB4_6
; %bb.11:                               ;   in Loop: Header=BB4_8 Depth=1
	v_mov_b32_e32 v2, v12
	s_branch .LBB4_7
.LBB4_12:
	s_or_b64 exec, exec, s[2:3]
; %bb.13:
	v_sub_u32_e32 v4, v10, v4
	s_waitcnt lgkmcnt(0)
	v_cmp_gt_i32_e32 vcc, s18, v4
	s_and_b64 exec, exec, vcc
	s_cbranch_execz .LBB4_16
; %bb.14:
	v_mul_lo_u32 v1, s20, v4
	v_mov_b32_e32 v2, 0
	s_mov_b64 s[0:1], 0
	v_mov_b32_e32 v5, s9
	v_mov_b32_e32 v6, -1
	v_add3_u32 v0, v0, v1, s21
	v_mov_b32_e32 v7, s11
	v_mov_b32_e32 v3, v2
.LBB4_15:                               ; =>This Inner Loop Header: Depth=1
	v_ashrrev_i32_e32 v1, 31, v0
	v_lshlrev_b64 v[8:9], 2, v[0:1]
	v_add_u32_e32 v4, 1, v4
	v_add_co_u32_e32 v8, vcc, s8, v8
	v_addc_co_u32_e32 v9, vcc, v5, v9, vcc
	global_store_dword v[8:9], v6, off
	v_lshlrev_b64 v[8:9], 3, v[0:1]
	v_add_u32_e32 v0, s20, v0
	v_add_co_u32_e32 v8, vcc, s10, v8
	v_addc_co_u32_e32 v9, vcc, v7, v9, vcc
	v_cmp_le_i32_e32 vcc, s18, v4
	s_or_b64 s[0:1], vcc, s[0:1]
	global_store_dwordx2 v[8:9], v[2:3], off
	s_andn2_b64 exec, exec, s[0:1]
	s_cbranch_execnz .LBB4_15
.LBB4_16:
	s_endpgm
	.section	.rodata,"a",@progbits
	.p2align	6, 0x0
	.amdhsa_kernel _ZN9rocsparseL14csr2hyb_kernelILj512EdEEviPKT0_PKiS5_iPiPS1_S6_S6_S7_S6_21rocsparse_index_base_
		.amdhsa_group_segment_fixed_size 0
		.amdhsa_private_segment_fixed_size 0
		.amdhsa_kernarg_size 92
		.amdhsa_user_sgpr_count 6
		.amdhsa_user_sgpr_private_segment_buffer 1
		.amdhsa_user_sgpr_dispatch_ptr 0
		.amdhsa_user_sgpr_queue_ptr 0
		.amdhsa_user_sgpr_kernarg_segment_ptr 1
		.amdhsa_user_sgpr_dispatch_id 0
		.amdhsa_user_sgpr_flat_scratch_init 0
		.amdhsa_user_sgpr_private_segment_size 0
		.amdhsa_uses_dynamic_stack 0
		.amdhsa_system_sgpr_private_segment_wavefront_offset 0
		.amdhsa_system_sgpr_workgroup_id_x 1
		.amdhsa_system_sgpr_workgroup_id_y 0
		.amdhsa_system_sgpr_workgroup_id_z 0
		.amdhsa_system_sgpr_workgroup_info 0
		.amdhsa_system_vgpr_workitem_id 0
		.amdhsa_next_free_vgpr 22
		.amdhsa_next_free_sgpr 22
		.amdhsa_reserve_vcc 1
		.amdhsa_reserve_flat_scratch 0
		.amdhsa_float_round_mode_32 0
		.amdhsa_float_round_mode_16_64 0
		.amdhsa_float_denorm_mode_32 3
		.amdhsa_float_denorm_mode_16_64 3
		.amdhsa_dx10_clamp 1
		.amdhsa_ieee_mode 1
		.amdhsa_fp16_overflow 0
		.amdhsa_exception_fp_ieee_invalid_op 0
		.amdhsa_exception_fp_denorm_src 0
		.amdhsa_exception_fp_ieee_div_zero 0
		.amdhsa_exception_fp_ieee_overflow 0
		.amdhsa_exception_fp_ieee_underflow 0
		.amdhsa_exception_fp_ieee_inexact 0
		.amdhsa_exception_int_div_zero 0
	.end_amdhsa_kernel
	.section	.text._ZN9rocsparseL14csr2hyb_kernelILj512EdEEviPKT0_PKiS5_iPiPS1_S6_S6_S7_S6_21rocsparse_index_base_,"axG",@progbits,_ZN9rocsparseL14csr2hyb_kernelILj512EdEEviPKT0_PKiS5_iPiPS1_S6_S6_S7_S6_21rocsparse_index_base_,comdat
.Lfunc_end4:
	.size	_ZN9rocsparseL14csr2hyb_kernelILj512EdEEviPKT0_PKiS5_iPiPS1_S6_S6_S7_S6_21rocsparse_index_base_, .Lfunc_end4-_ZN9rocsparseL14csr2hyb_kernelILj512EdEEviPKT0_PKiS5_iPiPS1_S6_S6_S7_S6_21rocsparse_index_base_
                                        ; -- End function
	.set _ZN9rocsparseL14csr2hyb_kernelILj512EdEEviPKT0_PKiS5_iPiPS1_S6_S6_S7_S6_21rocsparse_index_base_.num_vgpr, 22
	.set _ZN9rocsparseL14csr2hyb_kernelILj512EdEEviPKT0_PKiS5_iPiPS1_S6_S6_S7_S6_21rocsparse_index_base_.num_agpr, 0
	.set _ZN9rocsparseL14csr2hyb_kernelILj512EdEEviPKT0_PKiS5_iPiPS1_S6_S6_S7_S6_21rocsparse_index_base_.numbered_sgpr, 22
	.set _ZN9rocsparseL14csr2hyb_kernelILj512EdEEviPKT0_PKiS5_iPiPS1_S6_S6_S7_S6_21rocsparse_index_base_.num_named_barrier, 0
	.set _ZN9rocsparseL14csr2hyb_kernelILj512EdEEviPKT0_PKiS5_iPiPS1_S6_S6_S7_S6_21rocsparse_index_base_.private_seg_size, 0
	.set _ZN9rocsparseL14csr2hyb_kernelILj512EdEEviPKT0_PKiS5_iPiPS1_S6_S6_S7_S6_21rocsparse_index_base_.uses_vcc, 1
	.set _ZN9rocsparseL14csr2hyb_kernelILj512EdEEviPKT0_PKiS5_iPiPS1_S6_S6_S7_S6_21rocsparse_index_base_.uses_flat_scratch, 0
	.set _ZN9rocsparseL14csr2hyb_kernelILj512EdEEviPKT0_PKiS5_iPiPS1_S6_S6_S7_S6_21rocsparse_index_base_.has_dyn_sized_stack, 0
	.set _ZN9rocsparseL14csr2hyb_kernelILj512EdEEviPKT0_PKiS5_iPiPS1_S6_S6_S7_S6_21rocsparse_index_base_.has_recursion, 0
	.set _ZN9rocsparseL14csr2hyb_kernelILj512EdEEviPKT0_PKiS5_iPiPS1_S6_S6_S7_S6_21rocsparse_index_base_.has_indirect_call, 0
	.section	.AMDGPU.csdata,"",@progbits
; Kernel info:
; codeLenInByte = 680
; TotalNumSgprs: 26
; NumVgprs: 22
; ScratchSize: 0
; MemoryBound: 0
; FloatMode: 240
; IeeeMode: 1
; LDSByteSize: 0 bytes/workgroup (compile time only)
; SGPRBlocks: 3
; VGPRBlocks: 5
; NumSGPRsForWavesPerEU: 26
; NumVGPRsForWavesPerEU: 22
; Occupancy: 10
; WaveLimiterHint : 0
; COMPUTE_PGM_RSRC2:SCRATCH_EN: 0
; COMPUTE_PGM_RSRC2:USER_SGPR: 6
; COMPUTE_PGM_RSRC2:TRAP_HANDLER: 0
; COMPUTE_PGM_RSRC2:TGID_X_EN: 1
; COMPUTE_PGM_RSRC2:TGID_Y_EN: 0
; COMPUTE_PGM_RSRC2:TGID_Z_EN: 0
; COMPUTE_PGM_RSRC2:TIDIG_COMP_CNT: 0
	.section	.text._ZN9rocsparseL14csr2hyb_kernelILj512E21rocsparse_complex_numIfEEEviPKT0_PKiS7_iPiPS3_S8_S8_S9_S8_21rocsparse_index_base_,"axG",@progbits,_ZN9rocsparseL14csr2hyb_kernelILj512E21rocsparse_complex_numIfEEEviPKT0_PKiS7_iPiPS3_S8_S8_S9_S8_21rocsparse_index_base_,comdat
	.globl	_ZN9rocsparseL14csr2hyb_kernelILj512E21rocsparse_complex_numIfEEEviPKT0_PKiS7_iPiPS3_S8_S8_S9_S8_21rocsparse_index_base_ ; -- Begin function _ZN9rocsparseL14csr2hyb_kernelILj512E21rocsparse_complex_numIfEEEviPKT0_PKiS7_iPiPS3_S8_S8_S9_S8_21rocsparse_index_base_
	.p2align	8
	.type	_ZN9rocsparseL14csr2hyb_kernelILj512E21rocsparse_complex_numIfEEEviPKT0_PKiS7_iPiPS3_S8_S8_S9_S8_21rocsparse_index_base_,@function
_ZN9rocsparseL14csr2hyb_kernelILj512E21rocsparse_complex_numIfEEEviPKT0_PKiS7_iPiPS3_S8_S8_S9_S8_21rocsparse_index_base_: ; @_ZN9rocsparseL14csr2hyb_kernelILj512E21rocsparse_complex_numIfEEEviPKT0_PKiS7_iPiPS3_S8_S8_S9_S8_21rocsparse_index_base_
; %bb.0:
	s_load_dword s20, s[4:5], 0x0
	s_lshl_b32 s21, s6, 9
	v_or_b32_e32 v1, s21, v0
	s_waitcnt lgkmcnt(0)
	v_cmp_gt_i32_e32 vcc, s20, v1
	s_and_saveexec_b64 s[0:1], vcc
	s_cbranch_execz .LBB5_16
; %bb.1:
	s_load_dwordx4 s[16:19], s[4:5], 0x8
	v_ashrrev_i32_e32 v2, 31, v1
	v_lshlrev_b64 v[2:3], 2, v[1:2]
	s_waitcnt lgkmcnt(0)
	v_mov_b32_e32 v5, s19
	v_add_co_u32_e32 v4, vcc, s18, v2
	v_addc_co_u32_e32 v5, vcc, v5, v3, vcc
	global_load_dwordx2 v[5:6], v[4:5], off
	s_load_dwordx8 s[8:15], s[4:5], 0x28
	s_load_dwordx4 s[0:3], s[4:5], 0x48
	s_load_dword s6, s[4:5], 0x58
	s_waitcnt lgkmcnt(0)
	s_cmp_eq_u64 s[12:13], 0
	s_cbranch_scc1 .LBB5_3
; %bb.2:
	v_mov_b32_e32 v4, s3
	v_add_co_u32_e32 v2, vcc, s2, v2
	v_addc_co_u32_e32 v3, vcc, v4, v3, vcc
	global_load_dword v2, v[2:3], off
	s_waitcnt vmcnt(0)
	v_subrev_u32_e32 v2, s6, v2
	s_branch .LBB5_4
.LBB5_3:
	v_mov_b32_e32 v2, 0
.LBB5_4:
	s_load_dword s18, s[4:5], 0x20
	s_waitcnt vmcnt(0)
	v_subrev_u32_e32 v4, s6, v5
	v_subrev_u32_e32 v10, s6, v6
	v_cmp_lt_i32_e32 vcc, v5, v6
	s_and_saveexec_b64 s[2:3], vcc
	s_cbranch_execz .LBB5_12
; %bb.5:
	s_load_dwordx2 s[4:5], s[4:5], 0x18
	v_ashrrev_i32_e32 v5, 31, v4
	v_lshlrev_b64 v[6:7], 3, v[4:5]
	v_mov_b32_e32 v3, s17
	v_add_co_u32_e32 v6, vcc, s16, v6
	v_lshlrev_b64 v[8:9], 2, v[4:5]
	v_addc_co_u32_e32 v7, vcc, v3, v7, vcc
	s_waitcnt lgkmcnt(0)
	v_mov_b32_e32 v3, s5
	v_add_co_u32_e32 v8, vcc, s4, v8
	v_add_u32_e32 v11, s6, v1
	v_addc_co_u32_e32 v9, vcc, v3, v9, vcc
	s_mov_b32 s16, 0
	s_mov_b64 s[4:5], 0
	v_mov_b32_e32 v5, v4
	s_branch .LBB5_8
.LBB5_6:                                ;   in Loop: Header=BB5_8 Depth=1
	global_load_dword v3, v[8:9], off
	s_mul_i32 s6, s16, s20
	v_add_u32_e32 v12, s6, v1
	v_ashrrev_i32_e32 v13, 31, v12
	v_lshlrev_b64 v[14:15], 2, v[12:13]
	v_mov_b32_e32 v16, s9
	v_add_co_u32_e32 v14, vcc, s8, v14
	v_addc_co_u32_e32 v15, vcc, v16, v15, vcc
	v_lshlrev_b64 v[12:13], 3, v[12:13]
	s_add_i32 s16, s16, 1
	v_add_co_u32_e32 v12, vcc, s10, v12
	s_waitcnt vmcnt(0)
	global_store_dword v[14:15], v3, off
	global_load_dwordx2 v[14:15], v[6:7], off
	v_mov_b32_e32 v3, s11
	v_addc_co_u32_e32 v13, vcc, v3, v13, vcc
	s_waitcnt vmcnt(0)
	global_store_dwordx2 v[12:13], v[14:15], off
.LBB5_7:                                ;   in Loop: Header=BB5_8 Depth=1
	v_add_co_u32_e32 v6, vcc, 8, v6
	v_add_u32_e32 v5, 1, v5
	v_addc_co_u32_e32 v7, vcc, 0, v7, vcc
	v_cmp_ge_i32_e32 vcc, v5, v10
	s_or_b64 s[4:5], vcc, s[4:5]
	v_add_co_u32_e32 v8, vcc, 4, v8
	v_addc_co_u32_e32 v9, vcc, 0, v9, vcc
	s_andn2_b64 exec, exec, s[4:5]
	s_cbranch_execz .LBB5_12
.LBB5_8:                                ; =>This Inner Loop Header: Depth=1
	s_cmp_ge_i32 s16, s18
	s_mov_b64 s[6:7], -1
                                        ; implicit-def: $vgpr12
	s_cbranch_scc0 .LBB5_10
; %bb.9:                                ;   in Loop: Header=BB5_8 Depth=1
	v_ashrrev_i32_e32 v3, 31, v2
	v_lshlrev_b64 v[12:13], 2, v[2:3]
	v_mov_b32_e32 v15, s13
	v_add_co_u32_e32 v14, vcc, s12, v12
	v_addc_co_u32_e32 v15, vcc, v15, v13, vcc
	global_store_dword v[14:15], v11, off
	global_load_dword v14, v[8:9], off
	v_mov_b32_e32 v15, s15
	v_add_co_u32_e32 v12, vcc, s14, v12
	v_addc_co_u32_e32 v13, vcc, v15, v13, vcc
	v_lshlrev_b64 v[15:16], 3, v[2:3]
	v_mov_b32_e32 v17, s1
	v_add_co_u32_e32 v15, vcc, s0, v15
	v_addc_co_u32_e32 v16, vcc, v17, v16, vcc
	s_mov_b64 s[6:7], 0
	s_waitcnt vmcnt(0)
	global_store_dword v[12:13], v14, off
	global_load_dwordx2 v[13:14], v[6:7], off
	v_add_u32_e32 v12, 1, v2
	s_waitcnt vmcnt(0)
	global_store_dwordx2 v[15:16], v[13:14], off
.LBB5_10:                               ;   in Loop: Header=BB5_8 Depth=1
	s_andn2_b64 vcc, exec, s[6:7]
	s_cbranch_vccz .LBB5_6
; %bb.11:                               ;   in Loop: Header=BB5_8 Depth=1
	v_mov_b32_e32 v2, v12
	s_branch .LBB5_7
.LBB5_12:
	s_or_b64 exec, exec, s[2:3]
; %bb.13:
	v_sub_u32_e32 v4, v10, v4
	s_waitcnt lgkmcnt(0)
	v_cmp_gt_i32_e32 vcc, s18, v4
	s_and_b64 exec, exec, vcc
	s_cbranch_execz .LBB5_16
; %bb.14:
	v_mul_lo_u32 v1, s20, v4
	v_mov_b32_e32 v2, 0
	s_mov_b64 s[0:1], 0
	v_mov_b32_e32 v5, s9
	v_mov_b32_e32 v6, -1
	v_add3_u32 v0, v0, v1, s21
	v_mov_b32_e32 v7, s11
	v_mov_b32_e32 v3, v2
.LBB5_15:                               ; =>This Inner Loop Header: Depth=1
	v_ashrrev_i32_e32 v1, 31, v0
	v_lshlrev_b64 v[8:9], 2, v[0:1]
	v_add_u32_e32 v4, 1, v4
	v_add_co_u32_e32 v8, vcc, s8, v8
	v_addc_co_u32_e32 v9, vcc, v5, v9, vcc
	global_store_dword v[8:9], v6, off
	v_lshlrev_b64 v[8:9], 3, v[0:1]
	v_add_u32_e32 v0, s20, v0
	v_add_co_u32_e32 v8, vcc, s10, v8
	v_addc_co_u32_e32 v9, vcc, v7, v9, vcc
	v_cmp_le_i32_e32 vcc, s18, v4
	s_or_b64 s[0:1], vcc, s[0:1]
	global_store_dwordx2 v[8:9], v[2:3], off
	s_andn2_b64 exec, exec, s[0:1]
	s_cbranch_execnz .LBB5_15
.LBB5_16:
	s_endpgm
	.section	.rodata,"a",@progbits
	.p2align	6, 0x0
	.amdhsa_kernel _ZN9rocsparseL14csr2hyb_kernelILj512E21rocsparse_complex_numIfEEEviPKT0_PKiS7_iPiPS3_S8_S8_S9_S8_21rocsparse_index_base_
		.amdhsa_group_segment_fixed_size 0
		.amdhsa_private_segment_fixed_size 0
		.amdhsa_kernarg_size 92
		.amdhsa_user_sgpr_count 6
		.amdhsa_user_sgpr_private_segment_buffer 1
		.amdhsa_user_sgpr_dispatch_ptr 0
		.amdhsa_user_sgpr_queue_ptr 0
		.amdhsa_user_sgpr_kernarg_segment_ptr 1
		.amdhsa_user_sgpr_dispatch_id 0
		.amdhsa_user_sgpr_flat_scratch_init 0
		.amdhsa_user_sgpr_private_segment_size 0
		.amdhsa_uses_dynamic_stack 0
		.amdhsa_system_sgpr_private_segment_wavefront_offset 0
		.amdhsa_system_sgpr_workgroup_id_x 1
		.amdhsa_system_sgpr_workgroup_id_y 0
		.amdhsa_system_sgpr_workgroup_id_z 0
		.amdhsa_system_sgpr_workgroup_info 0
		.amdhsa_system_vgpr_workitem_id 0
		.amdhsa_next_free_vgpr 18
		.amdhsa_next_free_sgpr 22
		.amdhsa_reserve_vcc 1
		.amdhsa_reserve_flat_scratch 0
		.amdhsa_float_round_mode_32 0
		.amdhsa_float_round_mode_16_64 0
		.amdhsa_float_denorm_mode_32 3
		.amdhsa_float_denorm_mode_16_64 3
		.amdhsa_dx10_clamp 1
		.amdhsa_ieee_mode 1
		.amdhsa_fp16_overflow 0
		.amdhsa_exception_fp_ieee_invalid_op 0
		.amdhsa_exception_fp_denorm_src 0
		.amdhsa_exception_fp_ieee_div_zero 0
		.amdhsa_exception_fp_ieee_overflow 0
		.amdhsa_exception_fp_ieee_underflow 0
		.amdhsa_exception_fp_ieee_inexact 0
		.amdhsa_exception_int_div_zero 0
	.end_amdhsa_kernel
	.section	.text._ZN9rocsparseL14csr2hyb_kernelILj512E21rocsparse_complex_numIfEEEviPKT0_PKiS7_iPiPS3_S8_S8_S9_S8_21rocsparse_index_base_,"axG",@progbits,_ZN9rocsparseL14csr2hyb_kernelILj512E21rocsparse_complex_numIfEEEviPKT0_PKiS7_iPiPS3_S8_S8_S9_S8_21rocsparse_index_base_,comdat
.Lfunc_end5:
	.size	_ZN9rocsparseL14csr2hyb_kernelILj512E21rocsparse_complex_numIfEEEviPKT0_PKiS7_iPiPS3_S8_S8_S9_S8_21rocsparse_index_base_, .Lfunc_end5-_ZN9rocsparseL14csr2hyb_kernelILj512E21rocsparse_complex_numIfEEEviPKT0_PKiS7_iPiPS3_S8_S8_S9_S8_21rocsparse_index_base_
                                        ; -- End function
	.set _ZN9rocsparseL14csr2hyb_kernelILj512E21rocsparse_complex_numIfEEEviPKT0_PKiS7_iPiPS3_S8_S8_S9_S8_21rocsparse_index_base_.num_vgpr, 18
	.set _ZN9rocsparseL14csr2hyb_kernelILj512E21rocsparse_complex_numIfEEEviPKT0_PKiS7_iPiPS3_S8_S8_S9_S8_21rocsparse_index_base_.num_agpr, 0
	.set _ZN9rocsparseL14csr2hyb_kernelILj512E21rocsparse_complex_numIfEEEviPKT0_PKiS7_iPiPS3_S8_S8_S9_S8_21rocsparse_index_base_.numbered_sgpr, 22
	.set _ZN9rocsparseL14csr2hyb_kernelILj512E21rocsparse_complex_numIfEEEviPKT0_PKiS7_iPiPS3_S8_S8_S9_S8_21rocsparse_index_base_.num_named_barrier, 0
	.set _ZN9rocsparseL14csr2hyb_kernelILj512E21rocsparse_complex_numIfEEEviPKT0_PKiS7_iPiPS3_S8_S8_S9_S8_21rocsparse_index_base_.private_seg_size, 0
	.set _ZN9rocsparseL14csr2hyb_kernelILj512E21rocsparse_complex_numIfEEEviPKT0_PKiS7_iPiPS3_S8_S8_S9_S8_21rocsparse_index_base_.uses_vcc, 1
	.set _ZN9rocsparseL14csr2hyb_kernelILj512E21rocsparse_complex_numIfEEEviPKT0_PKiS7_iPiPS3_S8_S8_S9_S8_21rocsparse_index_base_.uses_flat_scratch, 0
	.set _ZN9rocsparseL14csr2hyb_kernelILj512E21rocsparse_complex_numIfEEEviPKT0_PKiS7_iPiPS3_S8_S8_S9_S8_21rocsparse_index_base_.has_dyn_sized_stack, 0
	.set _ZN9rocsparseL14csr2hyb_kernelILj512E21rocsparse_complex_numIfEEEviPKT0_PKiS7_iPiPS3_S8_S8_S9_S8_21rocsparse_index_base_.has_recursion, 0
	.set _ZN9rocsparseL14csr2hyb_kernelILj512E21rocsparse_complex_numIfEEEviPKT0_PKiS7_iPiPS3_S8_S8_S9_S8_21rocsparse_index_base_.has_indirect_call, 0
	.section	.AMDGPU.csdata,"",@progbits
; Kernel info:
; codeLenInByte = 672
; TotalNumSgprs: 26
; NumVgprs: 18
; ScratchSize: 0
; MemoryBound: 0
; FloatMode: 240
; IeeeMode: 1
; LDSByteSize: 0 bytes/workgroup (compile time only)
; SGPRBlocks: 3
; VGPRBlocks: 4
; NumSGPRsForWavesPerEU: 26
; NumVGPRsForWavesPerEU: 18
; Occupancy: 10
; WaveLimiterHint : 0
; COMPUTE_PGM_RSRC2:SCRATCH_EN: 0
; COMPUTE_PGM_RSRC2:USER_SGPR: 6
; COMPUTE_PGM_RSRC2:TRAP_HANDLER: 0
; COMPUTE_PGM_RSRC2:TGID_X_EN: 1
; COMPUTE_PGM_RSRC2:TGID_Y_EN: 0
; COMPUTE_PGM_RSRC2:TGID_Z_EN: 0
; COMPUTE_PGM_RSRC2:TIDIG_COMP_CNT: 0
	.section	.text._ZN9rocsparseL14csr2hyb_kernelILj512E21rocsparse_complex_numIdEEEviPKT0_PKiS7_iPiPS3_S8_S8_S9_S8_21rocsparse_index_base_,"axG",@progbits,_ZN9rocsparseL14csr2hyb_kernelILj512E21rocsparse_complex_numIdEEEviPKT0_PKiS7_iPiPS3_S8_S8_S9_S8_21rocsparse_index_base_,comdat
	.globl	_ZN9rocsparseL14csr2hyb_kernelILj512E21rocsparse_complex_numIdEEEviPKT0_PKiS7_iPiPS3_S8_S8_S9_S8_21rocsparse_index_base_ ; -- Begin function _ZN9rocsparseL14csr2hyb_kernelILj512E21rocsparse_complex_numIdEEEviPKT0_PKiS7_iPiPS3_S8_S8_S9_S8_21rocsparse_index_base_
	.p2align	8
	.type	_ZN9rocsparseL14csr2hyb_kernelILj512E21rocsparse_complex_numIdEEEviPKT0_PKiS7_iPiPS3_S8_S8_S9_S8_21rocsparse_index_base_,@function
_ZN9rocsparseL14csr2hyb_kernelILj512E21rocsparse_complex_numIdEEEviPKT0_PKiS7_iPiPS3_S8_S8_S9_S8_21rocsparse_index_base_: ; @_ZN9rocsparseL14csr2hyb_kernelILj512E21rocsparse_complex_numIdEEEviPKT0_PKiS7_iPiPS3_S8_S8_S9_S8_21rocsparse_index_base_
; %bb.0:
	s_load_dword s20, s[4:5], 0x0
	s_lshl_b32 s21, s6, 9
	v_or_b32_e32 v1, s21, v0
	s_waitcnt lgkmcnt(0)
	v_cmp_gt_i32_e32 vcc, s20, v1
	s_and_saveexec_b64 s[0:1], vcc
	s_cbranch_execz .LBB6_16
; %bb.1:
	s_load_dwordx4 s[16:19], s[4:5], 0x8
	v_ashrrev_i32_e32 v2, 31, v1
	v_lshlrev_b64 v[2:3], 2, v[1:2]
	s_waitcnt lgkmcnt(0)
	v_mov_b32_e32 v5, s19
	v_add_co_u32_e32 v4, vcc, s18, v2
	v_addc_co_u32_e32 v5, vcc, v5, v3, vcc
	global_load_dwordx2 v[5:6], v[4:5], off
	s_load_dwordx8 s[8:15], s[4:5], 0x28
	s_load_dwordx4 s[0:3], s[4:5], 0x48
	s_load_dword s6, s[4:5], 0x58
	s_waitcnt lgkmcnt(0)
	s_cmp_eq_u64 s[12:13], 0
	s_cbranch_scc1 .LBB6_3
; %bb.2:
	v_mov_b32_e32 v4, s3
	v_add_co_u32_e32 v2, vcc, s2, v2
	v_addc_co_u32_e32 v3, vcc, v4, v3, vcc
	global_load_dword v2, v[2:3], off
	s_waitcnt vmcnt(0)
	v_subrev_u32_e32 v2, s6, v2
	s_branch .LBB6_4
.LBB6_3:
	v_mov_b32_e32 v2, 0
.LBB6_4:
	s_load_dword s18, s[4:5], 0x20
	s_waitcnt vmcnt(0)
	v_subrev_u32_e32 v4, s6, v5
	v_subrev_u32_e32 v10, s6, v6
	v_cmp_lt_i32_e32 vcc, v5, v6
	s_and_saveexec_b64 s[2:3], vcc
	s_cbranch_execz .LBB6_12
; %bb.5:
	s_load_dwordx2 s[4:5], s[4:5], 0x18
	v_ashrrev_i32_e32 v5, 31, v4
	v_lshlrev_b64 v[6:7], 4, v[4:5]
	v_mov_b32_e32 v3, s17
	v_add_co_u32_e32 v6, vcc, s16, v6
	v_lshlrev_b64 v[8:9], 2, v[4:5]
	v_addc_co_u32_e32 v7, vcc, v3, v7, vcc
	s_waitcnt lgkmcnt(0)
	v_mov_b32_e32 v3, s5
	v_add_co_u32_e32 v8, vcc, s4, v8
	v_add_u32_e32 v11, s6, v1
	v_addc_co_u32_e32 v9, vcc, v3, v9, vcc
	s_mov_b32 s16, 0
	s_mov_b64 s[4:5], 0
	v_mov_b32_e32 v5, v4
	s_branch .LBB6_8
.LBB6_6:                                ;   in Loop: Header=BB6_8 Depth=1
	global_load_dword v3, v[8:9], off
	s_mul_i32 s6, s16, s20
	v_add_u32_e32 v16, s6, v1
	v_ashrrev_i32_e32 v17, 31, v16
	v_lshlrev_b64 v[12:13], 2, v[16:17]
	v_mov_b32_e32 v14, s9
	v_add_co_u32_e32 v12, vcc, s8, v12
	v_addc_co_u32_e32 v13, vcc, v14, v13, vcc
	v_lshlrev_b64 v[16:17], 4, v[16:17]
	s_add_i32 s16, s16, 1
	v_add_co_u32_e32 v16, vcc, s10, v16
	s_waitcnt vmcnt(0)
	global_store_dword v[12:13], v3, off
	global_load_dwordx4 v[12:15], v[6:7], off
	v_mov_b32_e32 v3, s11
	v_addc_co_u32_e32 v17, vcc, v3, v17, vcc
	s_waitcnt vmcnt(0)
	global_store_dwordx4 v[16:17], v[12:15], off
.LBB6_7:                                ;   in Loop: Header=BB6_8 Depth=1
	v_add_co_u32_e32 v6, vcc, 16, v6
	v_add_u32_e32 v5, 1, v5
	v_addc_co_u32_e32 v7, vcc, 0, v7, vcc
	v_cmp_ge_i32_e32 vcc, v5, v10
	s_or_b64 s[4:5], vcc, s[4:5]
	v_add_co_u32_e32 v8, vcc, 4, v8
	v_addc_co_u32_e32 v9, vcc, 0, v9, vcc
	s_andn2_b64 exec, exec, s[4:5]
	s_cbranch_execz .LBB6_12
.LBB6_8:                                ; =>This Inner Loop Header: Depth=1
	s_cmp_ge_i32 s16, s18
	s_mov_b64 s[6:7], -1
                                        ; implicit-def: $vgpr12
	s_cbranch_scc0 .LBB6_10
; %bb.9:                                ;   in Loop: Header=BB6_8 Depth=1
	v_ashrrev_i32_e32 v3, 31, v2
	v_lshlrev_b64 v[12:13], 2, v[2:3]
	v_mov_b32_e32 v15, s13
	v_add_co_u32_e32 v14, vcc, s12, v12
	v_addc_co_u32_e32 v15, vcc, v15, v13, vcc
	global_store_dword v[14:15], v11, off
	global_load_dword v14, v[8:9], off
	v_mov_b32_e32 v15, s15
	v_add_co_u32_e32 v12, vcc, s14, v12
	v_addc_co_u32_e32 v13, vcc, v15, v13, vcc
	v_lshlrev_b64 v[17:18], 4, v[2:3]
	v_mov_b32_e32 v19, s1
	v_add_co_u32_e32 v17, vcc, s0, v17
	v_addc_co_u32_e32 v18, vcc, v19, v18, vcc
	s_mov_b64 s[6:7], 0
	s_waitcnt vmcnt(0)
	global_store_dword v[12:13], v14, off
	global_load_dwordx4 v[13:16], v[6:7], off
	v_add_u32_e32 v12, 1, v2
	s_waitcnt vmcnt(0)
	global_store_dwordx4 v[17:18], v[13:16], off
.LBB6_10:                               ;   in Loop: Header=BB6_8 Depth=1
	s_andn2_b64 vcc, exec, s[6:7]
	s_cbranch_vccz .LBB6_6
; %bb.11:                               ;   in Loop: Header=BB6_8 Depth=1
	v_mov_b32_e32 v2, v12
	s_branch .LBB6_7
.LBB6_12:
	s_or_b64 exec, exec, s[2:3]
; %bb.13:
	v_sub_u32_e32 v6, v10, v4
	s_waitcnt lgkmcnt(0)
	v_cmp_gt_i32_e32 vcc, s18, v6
	s_and_b64 exec, exec, vcc
	s_cbranch_execz .LBB6_16
; %bb.14:
	v_mul_lo_u32 v1, s20, v6
	s_mov_b64 s[0:1], 0
	v_mov_b32_e32 v7, s9
	v_mov_b32_e32 v8, -1
	v_add3_u32 v4, v0, v1, s21
	v_mov_b32_e32 v0, 0
	v_mov_b32_e32 v9, s11
	v_mov_b32_e32 v1, v0
	v_mov_b32_e32 v2, v0
	v_mov_b32_e32 v3, v0
.LBB6_15:                               ; =>This Inner Loop Header: Depth=1
	v_ashrrev_i32_e32 v5, 31, v4
	v_lshlrev_b64 v[10:11], 2, v[4:5]
	v_add_u32_e32 v6, 1, v6
	v_add_co_u32_e32 v10, vcc, s8, v10
	v_addc_co_u32_e32 v11, vcc, v7, v11, vcc
	global_store_dword v[10:11], v8, off
	v_lshlrev_b64 v[10:11], 4, v[4:5]
	v_add_u32_e32 v4, s20, v4
	v_add_co_u32_e32 v10, vcc, s10, v10
	v_addc_co_u32_e32 v11, vcc, v9, v11, vcc
	v_cmp_le_i32_e32 vcc, s18, v6
	s_or_b64 s[0:1], vcc, s[0:1]
	global_store_dwordx4 v[10:11], v[0:3], off
	s_andn2_b64 exec, exec, s[0:1]
	s_cbranch_execnz .LBB6_15
.LBB6_16:
	s_endpgm
	.section	.rodata,"a",@progbits
	.p2align	6, 0x0
	.amdhsa_kernel _ZN9rocsparseL14csr2hyb_kernelILj512E21rocsparse_complex_numIdEEEviPKT0_PKiS7_iPiPS3_S8_S8_S9_S8_21rocsparse_index_base_
		.amdhsa_group_segment_fixed_size 0
		.amdhsa_private_segment_fixed_size 0
		.amdhsa_kernarg_size 92
		.amdhsa_user_sgpr_count 6
		.amdhsa_user_sgpr_private_segment_buffer 1
		.amdhsa_user_sgpr_dispatch_ptr 0
		.amdhsa_user_sgpr_queue_ptr 0
		.amdhsa_user_sgpr_kernarg_segment_ptr 1
		.amdhsa_user_sgpr_dispatch_id 0
		.amdhsa_user_sgpr_flat_scratch_init 0
		.amdhsa_user_sgpr_private_segment_size 0
		.amdhsa_uses_dynamic_stack 0
		.amdhsa_system_sgpr_private_segment_wavefront_offset 0
		.amdhsa_system_sgpr_workgroup_id_x 1
		.amdhsa_system_sgpr_workgroup_id_y 0
		.amdhsa_system_sgpr_workgroup_id_z 0
		.amdhsa_system_sgpr_workgroup_info 0
		.amdhsa_system_vgpr_workitem_id 0
		.amdhsa_next_free_vgpr 20
		.amdhsa_next_free_sgpr 22
		.amdhsa_reserve_vcc 1
		.amdhsa_reserve_flat_scratch 0
		.amdhsa_float_round_mode_32 0
		.amdhsa_float_round_mode_16_64 0
		.amdhsa_float_denorm_mode_32 3
		.amdhsa_float_denorm_mode_16_64 3
		.amdhsa_dx10_clamp 1
		.amdhsa_ieee_mode 1
		.amdhsa_fp16_overflow 0
		.amdhsa_exception_fp_ieee_invalid_op 0
		.amdhsa_exception_fp_denorm_src 0
		.amdhsa_exception_fp_ieee_div_zero 0
		.amdhsa_exception_fp_ieee_overflow 0
		.amdhsa_exception_fp_ieee_underflow 0
		.amdhsa_exception_fp_ieee_inexact 0
		.amdhsa_exception_int_div_zero 0
	.end_amdhsa_kernel
	.section	.text._ZN9rocsparseL14csr2hyb_kernelILj512E21rocsparse_complex_numIdEEEviPKT0_PKiS7_iPiPS3_S8_S8_S9_S8_21rocsparse_index_base_,"axG",@progbits,_ZN9rocsparseL14csr2hyb_kernelILj512E21rocsparse_complex_numIdEEEviPKT0_PKiS7_iPiPS3_S8_S8_S9_S8_21rocsparse_index_base_,comdat
.Lfunc_end6:
	.size	_ZN9rocsparseL14csr2hyb_kernelILj512E21rocsparse_complex_numIdEEEviPKT0_PKiS7_iPiPS3_S8_S8_S9_S8_21rocsparse_index_base_, .Lfunc_end6-_ZN9rocsparseL14csr2hyb_kernelILj512E21rocsparse_complex_numIdEEEviPKT0_PKiS7_iPiPS3_S8_S8_S9_S8_21rocsparse_index_base_
                                        ; -- End function
	.set _ZN9rocsparseL14csr2hyb_kernelILj512E21rocsparse_complex_numIdEEEviPKT0_PKiS7_iPiPS3_S8_S8_S9_S8_21rocsparse_index_base_.num_vgpr, 20
	.set _ZN9rocsparseL14csr2hyb_kernelILj512E21rocsparse_complex_numIdEEEviPKT0_PKiS7_iPiPS3_S8_S8_S9_S8_21rocsparse_index_base_.num_agpr, 0
	.set _ZN9rocsparseL14csr2hyb_kernelILj512E21rocsparse_complex_numIdEEEviPKT0_PKiS7_iPiPS3_S8_S8_S9_S8_21rocsparse_index_base_.numbered_sgpr, 22
	.set _ZN9rocsparseL14csr2hyb_kernelILj512E21rocsparse_complex_numIdEEEviPKT0_PKiS7_iPiPS3_S8_S8_S9_S8_21rocsparse_index_base_.num_named_barrier, 0
	.set _ZN9rocsparseL14csr2hyb_kernelILj512E21rocsparse_complex_numIdEEEviPKT0_PKiS7_iPiPS3_S8_S8_S9_S8_21rocsparse_index_base_.private_seg_size, 0
	.set _ZN9rocsparseL14csr2hyb_kernelILj512E21rocsparse_complex_numIdEEEviPKT0_PKiS7_iPiPS3_S8_S8_S9_S8_21rocsparse_index_base_.uses_vcc, 1
	.set _ZN9rocsparseL14csr2hyb_kernelILj512E21rocsparse_complex_numIdEEEviPKT0_PKiS7_iPiPS3_S8_S8_S9_S8_21rocsparse_index_base_.uses_flat_scratch, 0
	.set _ZN9rocsparseL14csr2hyb_kernelILj512E21rocsparse_complex_numIdEEEviPKT0_PKiS7_iPiPS3_S8_S8_S9_S8_21rocsparse_index_base_.has_dyn_sized_stack, 0
	.set _ZN9rocsparseL14csr2hyb_kernelILj512E21rocsparse_complex_numIdEEEviPKT0_PKiS7_iPiPS3_S8_S8_S9_S8_21rocsparse_index_base_.has_recursion, 0
	.set _ZN9rocsparseL14csr2hyb_kernelILj512E21rocsparse_complex_numIdEEEviPKT0_PKiS7_iPiPS3_S8_S8_S9_S8_21rocsparse_index_base_.has_indirect_call, 0
	.section	.AMDGPU.csdata,"",@progbits
; Kernel info:
; codeLenInByte = 680
; TotalNumSgprs: 26
; NumVgprs: 20
; ScratchSize: 0
; MemoryBound: 0
; FloatMode: 240
; IeeeMode: 1
; LDSByteSize: 0 bytes/workgroup (compile time only)
; SGPRBlocks: 3
; VGPRBlocks: 4
; NumSGPRsForWavesPerEU: 26
; NumVGPRsForWavesPerEU: 20
; Occupancy: 10
; WaveLimiterHint : 0
; COMPUTE_PGM_RSRC2:SCRATCH_EN: 0
; COMPUTE_PGM_RSRC2:USER_SGPR: 6
; COMPUTE_PGM_RSRC2:TRAP_HANDLER: 0
; COMPUTE_PGM_RSRC2:TGID_X_EN: 1
; COMPUTE_PGM_RSRC2:TGID_Y_EN: 0
; COMPUTE_PGM_RSRC2:TGID_Z_EN: 0
; COMPUTE_PGM_RSRC2:TIDIG_COMP_CNT: 0
	.section	.AMDGPU.gpr_maximums,"",@progbits
	.set amdgpu.max_num_vgpr, 0
	.set amdgpu.max_num_agpr, 0
	.set amdgpu.max_num_sgpr, 0
	.section	.AMDGPU.csdata,"",@progbits
	.type	__hip_cuid_18112c3bdcf40725,@object ; @__hip_cuid_18112c3bdcf40725
	.section	.bss,"aw",@nobits
	.globl	__hip_cuid_18112c3bdcf40725
__hip_cuid_18112c3bdcf40725:
	.byte	0                               ; 0x0
	.size	__hip_cuid_18112c3bdcf40725, 1

	.ident	"AMD clang version 22.0.0git (https://github.com/RadeonOpenCompute/llvm-project roc-7.2.4 26084 f58b06dce1f9c15707c5f808fd002e18c2accf7e)"
	.section	".note.GNU-stack","",@progbits
	.addrsig
	.addrsig_sym __hip_cuid_18112c3bdcf40725
	.amdgpu_metadata
---
amdhsa.kernels:
  - .args:
      - .offset:         0
        .size:           4
        .value_kind:     by_value
      - .address_space:  global
        .offset:         8
        .size:           8
        .value_kind:     global_buffer
      - .address_space:  global
        .offset:         16
        .size:           8
        .value_kind:     global_buffer
      - .offset:         24
        .size:           4
        .value_kind:     hidden_block_count_x
      - .offset:         28
        .size:           4
        .value_kind:     hidden_block_count_y
      - .offset:         32
        .size:           4
        .value_kind:     hidden_block_count_z
      - .offset:         36
        .size:           2
        .value_kind:     hidden_group_size_x
      - .offset:         38
        .size:           2
        .value_kind:     hidden_group_size_y
      - .offset:         40
        .size:           2
        .value_kind:     hidden_group_size_z
      - .offset:         42
        .size:           2
        .value_kind:     hidden_remainder_x
      - .offset:         44
        .size:           2
        .value_kind:     hidden_remainder_y
      - .offset:         46
        .size:           2
        .value_kind:     hidden_remainder_z
      - .offset:         64
        .size:           8
        .value_kind:     hidden_global_offset_x
      - .offset:         72
        .size:           8
        .value_kind:     hidden_global_offset_y
      - .offset:         80
        .size:           8
        .value_kind:     hidden_global_offset_z
      - .offset:         88
        .size:           2
        .value_kind:     hidden_grid_dims
    .group_segment_fixed_size: 2048
    .kernarg_segment_align: 8
    .kernarg_segment_size: 280
    .language:       OpenCL C
    .language_version:
      - 2
      - 0
    .max_flat_workgroup_size: 512
    .name:           _ZN9rocsparseL22ell_width_kernel_part1ILj512EiiEEvT1_PKT0_PS1_
    .private_segment_fixed_size: 0
    .sgpr_count:     15
    .sgpr_spill_count: 0
    .symbol:         _ZN9rocsparseL22ell_width_kernel_part1ILj512EiiEEvT1_PKT0_PS1_.kd
    .uniform_work_group_size: 1
    .uses_dynamic_stack: false
    .vgpr_count:     8
    .vgpr_spill_count: 0
    .wavefront_size: 64
  - .args:
      - .offset:         0
        .size:           4
        .value_kind:     by_value
      - .address_space:  global
        .offset:         8
        .size:           8
        .value_kind:     global_buffer
    .group_segment_fixed_size: 2048
    .kernarg_segment_align: 8
    .kernarg_segment_size: 16
    .language:       OpenCL C
    .language_version:
      - 2
      - 0
    .max_flat_workgroup_size: 512
    .name:           _ZN9rocsparseL22ell_width_kernel_part2ILj512EiEEvT0_PS1_
    .private_segment_fixed_size: 0
    .sgpr_count:     11
    .sgpr_spill_count: 0
    .symbol:         _ZN9rocsparseL22ell_width_kernel_part2ILj512EiEEvT0_PS1_.kd
    .uniform_work_group_size: 1
    .uses_dynamic_stack: false
    .vgpr_count:     7
    .vgpr_spill_count: 0
    .wavefront_size: 64
  - .args:
      - .offset:         0
        .size:           4
        .value_kind:     by_value
      - .offset:         4
        .size:           4
        .value_kind:     by_value
      - .address_space:  global
        .offset:         8
        .size:           8
        .value_kind:     global_buffer
      - .address_space:  global
        .offset:         16
        .size:           8
        .value_kind:     global_buffer
      - .offset:         24
        .size:           4
        .value_kind:     by_value
    .group_segment_fixed_size: 0
    .kernarg_segment_align: 8
    .kernarg_segment_size: 28
    .language:       OpenCL C
    .language_version:
      - 2
      - 0
    .max_flat_workgroup_size: 512
    .name:           _ZN9rocsparseL11hyb_coo_nnzILj512EEEviiPKiPi21rocsparse_index_base_
    .private_segment_fixed_size: 0
    .sgpr_count:     14
    .sgpr_spill_count: 0
    .symbol:         _ZN9rocsparseL11hyb_coo_nnzILj512EEEviiPKiPi21rocsparse_index_base_.kd
    .uniform_work_group_size: 1
    .uses_dynamic_stack: false
    .vgpr_count:     6
    .vgpr_spill_count: 0
    .wavefront_size: 64
  - .args:
      - .offset:         0
        .size:           4
        .value_kind:     by_value
      - .address_space:  global
        .offset:         8
        .size:           8
        .value_kind:     global_buffer
      - .address_space:  global
        .offset:         16
        .size:           8
        .value_kind:     global_buffer
      - .address_space:  global
        .offset:         24
        .size:           8
        .value_kind:     global_buffer
      - .offset:         32
        .size:           4
        .value_kind:     by_value
      - .address_space:  global
        .offset:         40
        .size:           8
        .value_kind:     global_buffer
      - .address_space:  global
        .offset:         48
        .size:           8
        .value_kind:     global_buffer
      - .address_space:  global
        .offset:         56
        .size:           8
        .value_kind:     global_buffer
      - .address_space:  global
        .offset:         64
        .size:           8
        .value_kind:     global_buffer
      - .address_space:  global
        .offset:         72
        .size:           8
        .value_kind:     global_buffer
      - .address_space:  global
        .offset:         80
        .size:           8
        .value_kind:     global_buffer
      - .offset:         88
        .size:           4
        .value_kind:     by_value
    .group_segment_fixed_size: 0
    .kernarg_segment_align: 8
    .kernarg_segment_size: 92
    .language:       OpenCL C
    .language_version:
      - 2
      - 0
    .max_flat_workgroup_size: 512
    .name:           _ZN9rocsparseL14csr2hyb_kernelILj512EfEEviPKT0_PKiS5_iPiPS1_S6_S6_S7_S6_21rocsparse_index_base_
    .private_segment_fixed_size: 0
    .sgpr_count:     26
    .sgpr_spill_count: 0
    .symbol:         _ZN9rocsparseL14csr2hyb_kernelILj512EfEEviPKT0_PKiS5_iPiPS1_S6_S6_S7_S6_21rocsparse_index_base_.kd
    .uniform_work_group_size: 1
    .uses_dynamic_stack: false
    .vgpr_count:     19
    .vgpr_spill_count: 0
    .wavefront_size: 64
  - .args:
      - .offset:         0
        .size:           4
        .value_kind:     by_value
      - .address_space:  global
        .offset:         8
        .size:           8
        .value_kind:     global_buffer
      - .address_space:  global
        .offset:         16
        .size:           8
        .value_kind:     global_buffer
      - .address_space:  global
        .offset:         24
        .size:           8
        .value_kind:     global_buffer
      - .offset:         32
        .size:           4
        .value_kind:     by_value
      - .address_space:  global
        .offset:         40
        .size:           8
        .value_kind:     global_buffer
      - .address_space:  global
        .offset:         48
        .size:           8
        .value_kind:     global_buffer
      - .address_space:  global
        .offset:         56
        .size:           8
        .value_kind:     global_buffer
      - .address_space:  global
        .offset:         64
        .size:           8
        .value_kind:     global_buffer
      - .address_space:  global
        .offset:         72
        .size:           8
        .value_kind:     global_buffer
      - .address_space:  global
        .offset:         80
        .size:           8
        .value_kind:     global_buffer
      - .offset:         88
        .size:           4
        .value_kind:     by_value
    .group_segment_fixed_size: 0
    .kernarg_segment_align: 8
    .kernarg_segment_size: 92
    .language:       OpenCL C
    .language_version:
      - 2
      - 0
    .max_flat_workgroup_size: 512
    .name:           _ZN9rocsparseL14csr2hyb_kernelILj512EdEEviPKT0_PKiS5_iPiPS1_S6_S6_S7_S6_21rocsparse_index_base_
    .private_segment_fixed_size: 0
    .sgpr_count:     26
    .sgpr_spill_count: 0
    .symbol:         _ZN9rocsparseL14csr2hyb_kernelILj512EdEEviPKT0_PKiS5_iPiPS1_S6_S6_S7_S6_21rocsparse_index_base_.kd
    .uniform_work_group_size: 1
    .uses_dynamic_stack: false
    .vgpr_count:     22
    .vgpr_spill_count: 0
    .wavefront_size: 64
  - .args:
      - .offset:         0
        .size:           4
        .value_kind:     by_value
      - .address_space:  global
        .offset:         8
        .size:           8
        .value_kind:     global_buffer
      - .address_space:  global
        .offset:         16
        .size:           8
        .value_kind:     global_buffer
      - .address_space:  global
        .offset:         24
        .size:           8
        .value_kind:     global_buffer
      - .offset:         32
        .size:           4
        .value_kind:     by_value
      - .address_space:  global
        .offset:         40
        .size:           8
        .value_kind:     global_buffer
      - .address_space:  global
        .offset:         48
        .size:           8
        .value_kind:     global_buffer
      - .address_space:  global
        .offset:         56
        .size:           8
        .value_kind:     global_buffer
      - .address_space:  global
        .offset:         64
        .size:           8
        .value_kind:     global_buffer
      - .address_space:  global
        .offset:         72
        .size:           8
        .value_kind:     global_buffer
      - .address_space:  global
        .offset:         80
        .size:           8
        .value_kind:     global_buffer
      - .offset:         88
        .size:           4
        .value_kind:     by_value
    .group_segment_fixed_size: 0
    .kernarg_segment_align: 8
    .kernarg_segment_size: 92
    .language:       OpenCL C
    .language_version:
      - 2
      - 0
    .max_flat_workgroup_size: 512
    .name:           _ZN9rocsparseL14csr2hyb_kernelILj512E21rocsparse_complex_numIfEEEviPKT0_PKiS7_iPiPS3_S8_S8_S9_S8_21rocsparse_index_base_
    .private_segment_fixed_size: 0
    .sgpr_count:     26
    .sgpr_spill_count: 0
    .symbol:         _ZN9rocsparseL14csr2hyb_kernelILj512E21rocsparse_complex_numIfEEEviPKT0_PKiS7_iPiPS3_S8_S8_S9_S8_21rocsparse_index_base_.kd
    .uniform_work_group_size: 1
    .uses_dynamic_stack: false
    .vgpr_count:     18
    .vgpr_spill_count: 0
    .wavefront_size: 64
  - .args:
      - .offset:         0
        .size:           4
        .value_kind:     by_value
      - .address_space:  global
        .offset:         8
        .size:           8
        .value_kind:     global_buffer
      - .address_space:  global
        .offset:         16
        .size:           8
        .value_kind:     global_buffer
      - .address_space:  global
        .offset:         24
        .size:           8
        .value_kind:     global_buffer
      - .offset:         32
        .size:           4
        .value_kind:     by_value
      - .address_space:  global
        .offset:         40
        .size:           8
        .value_kind:     global_buffer
      - .address_space:  global
        .offset:         48
        .size:           8
        .value_kind:     global_buffer
      - .address_space:  global
        .offset:         56
        .size:           8
        .value_kind:     global_buffer
      - .address_space:  global
        .offset:         64
        .size:           8
        .value_kind:     global_buffer
      - .address_space:  global
        .offset:         72
        .size:           8
        .value_kind:     global_buffer
      - .address_space:  global
        .offset:         80
        .size:           8
        .value_kind:     global_buffer
      - .offset:         88
        .size:           4
        .value_kind:     by_value
    .group_segment_fixed_size: 0
    .kernarg_segment_align: 8
    .kernarg_segment_size: 92
    .language:       OpenCL C
    .language_version:
      - 2
      - 0
    .max_flat_workgroup_size: 512
    .name:           _ZN9rocsparseL14csr2hyb_kernelILj512E21rocsparse_complex_numIdEEEviPKT0_PKiS7_iPiPS3_S8_S8_S9_S8_21rocsparse_index_base_
    .private_segment_fixed_size: 0
    .sgpr_count:     26
    .sgpr_spill_count: 0
    .symbol:         _ZN9rocsparseL14csr2hyb_kernelILj512E21rocsparse_complex_numIdEEEviPKT0_PKiS7_iPiPS3_S8_S8_S9_S8_21rocsparse_index_base_.kd
    .uniform_work_group_size: 1
    .uses_dynamic_stack: false
    .vgpr_count:     20
    .vgpr_spill_count: 0
    .wavefront_size: 64
amdhsa.target:   amdgcn-amd-amdhsa--gfx906
amdhsa.version:
  - 1
  - 2
...

	.end_amdgpu_metadata
